;; amdgpu-corpus repo=ROCm/rocFFT kind=compiled arch=gfx1201 opt=O3
	.text
	.amdgcn_target "amdgcn-amd-amdhsa--gfx1201"
	.amdhsa_code_object_version 6
	.protected	bluestein_single_fwd_len800_dim1_half_op_CI_CI ; -- Begin function bluestein_single_fwd_len800_dim1_half_op_CI_CI
	.globl	bluestein_single_fwd_len800_dim1_half_op_CI_CI
	.p2align	8
	.type	bluestein_single_fwd_len800_dim1_half_op_CI_CI,@function
bluestein_single_fwd_len800_dim1_half_op_CI_CI: ; @bluestein_single_fwd_len800_dim1_half_op_CI_CI
; %bb.0:
	s_load_b128 s[8:11], s[0:1], 0x28
	v_mul_u32_u24_e32 v1, 0x19a, v0
	s_mov_b32 s2, exec_lo
	v_mov_b32_e32 v17, 0
	s_delay_alu instid0(VALU_DEP_2) | instskip(NEXT) | instid1(VALU_DEP_1)
	v_lshrrev_b32_e32 v1, 16, v1
	v_add_nc_u32_e32 v16, ttmp9, v1
	s_wait_kmcnt 0x0
	s_delay_alu instid0(VALU_DEP_1)
	v_cmpx_gt_u64_e64 s[8:9], v[16:17]
	s_cbranch_execz .LBB0_23
; %bb.1:
	s_clause 0x1
	s_load_b64 s[20:21], s[0:1], 0x0
	s_load_b64 s[8:9], s[0:1], 0x38
	v_mul_lo_u16 v1, 0xa0, v1
	s_delay_alu instid0(VALU_DEP_1) | instskip(NEXT) | instid1(VALU_DEP_1)
	v_sub_nc_u16 v0, v0, v1
	v_and_b32_e32 v32, 0xffff, v0
	v_cmp_gt_u16_e32 vcc_lo, 50, v0
	s_delay_alu instid0(VALU_DEP_2)
	v_lshlrev_b32_e32 v31, 2, v32
	s_and_saveexec_b32 s3, vcc_lo
	s_cbranch_execz .LBB0_3
; %bb.2:
	s_load_b64 s[4:5], s[0:1], 0x18
	s_wait_kmcnt 0x0
	s_load_b128 s[4:7], s[4:5], 0x0
	s_wait_kmcnt 0x0
	v_mad_co_u64_u32 v[0:1], null, s6, v16, 0
	v_mad_co_u64_u32 v[2:3], null, s4, v32, 0
	s_delay_alu instid0(VALU_DEP_1) | instskip(NEXT) | instid1(VALU_DEP_1)
	v_mad_co_u64_u32 v[4:5], null, s7, v16, v[1:2]
	v_mad_co_u64_u32 v[5:6], null, s5, v32, v[3:4]
	v_mov_b32_e32 v1, v4
	s_mul_u64 s[4:5], s[4:5], 0xc8
	s_clause 0xf
	global_load_b32 v6, v31, s[20:21]
	global_load_b32 v7, v31, s[20:21] offset:200
	global_load_b32 v8, v31, s[20:21] offset:400
	;; [unrolled: 1-line block ×15, first 2 shown]
	v_lshlrev_b64_e32 v[0:1], 2, v[0:1]
	v_mov_b32_e32 v3, v5
	s_delay_alu instid0(VALU_DEP_2) | instskip(NEXT) | instid1(VALU_DEP_2)
	v_add_co_u32 v0, s2, s10, v0
	v_lshlrev_b64_e32 v[2:3], 2, v[2:3]
	s_delay_alu instid0(VALU_DEP_4) | instskip(NEXT) | instid1(VALU_DEP_2)
	v_add_co_ci_u32_e64 v1, s2, s11, v1, s2
	v_add_co_u32 v0, s2, v0, v2
	s_wait_alu 0xf1ff
	s_delay_alu instid0(VALU_DEP_2) | instskip(SKIP_1) | instid1(VALU_DEP_2)
	v_add_co_ci_u32_e64 v1, s2, v1, v3, s2
	s_wait_alu 0xfffe
	v_add_co_u32 v2, s2, v0, s4
	s_wait_alu 0xf1ff
	s_delay_alu instid0(VALU_DEP_2)
	v_add_co_ci_u32_e64 v3, s2, s5, v1, s2
	s_clause 0x1
	global_load_b32 v23, v[0:1], off
	global_load_b32 v24, v[2:3], off
	v_add_co_u32 v0, s2, v2, s4
	s_wait_alu 0xf1ff
	v_add_co_ci_u32_e64 v1, s2, s5, v3, s2
	s_delay_alu instid0(VALU_DEP_2) | instskip(SKIP_1) | instid1(VALU_DEP_2)
	v_add_co_u32 v2, s2, v0, s4
	s_wait_alu 0xf1ff
	v_add_co_ci_u32_e64 v3, s2, s5, v1, s2
	s_clause 0x1
	global_load_b32 v25, v[0:1], off
	global_load_b32 v26, v[2:3], off
	v_add_co_u32 v0, s2, v2, s4
	s_wait_alu 0xf1ff
	v_add_co_ci_u32_e64 v1, s2, s5, v3, s2
	s_delay_alu instid0(VALU_DEP_2) | instskip(SKIP_1) | instid1(VALU_DEP_2)
	v_add_co_u32 v2, s2, v0, s4
	s_wait_alu 0xf1ff
	v_add_co_ci_u32_e64 v3, s2, s5, v1, s2
	global_load_b32 v27, v[0:1], off
	global_load_b32 v28, v[2:3], off
	v_add_co_u32 v0, s2, v2, s4
	s_wait_alu 0xf1ff
	v_add_co_ci_u32_e64 v1, s2, s5, v3, s2
	s_delay_alu instid0(VALU_DEP_2) | instskip(SKIP_1) | instid1(VALU_DEP_2)
	v_add_co_u32 v2, s2, v0, s4
	s_wait_alu 0xf1ff
	v_add_co_ci_u32_e64 v3, s2, s5, v1, s2
	global_load_b32 v29, v[0:1], off
	v_add_co_u32 v0, s2, v2, s4
	s_wait_alu 0xf1ff
	v_add_co_ci_u32_e64 v1, s2, s5, v3, s2
	global_load_b32 v30, v[2:3], off
	global_load_b32 v33, v[0:1], off
	v_add_co_u32 v0, s2, v0, s4
	s_wait_alu 0xf1ff
	v_add_co_ci_u32_e64 v1, s2, s5, v1, s2
	s_delay_alu instid0(VALU_DEP_2) | instskip(SKIP_1) | instid1(VALU_DEP_2)
	v_add_co_u32 v2, s2, v0, s4
	s_wait_alu 0xf1ff
	v_add_co_ci_u32_e64 v3, s2, s5, v1, s2
	global_load_b32 v34, v[0:1], off
	v_add_co_u32 v0, s2, v2, s4
	s_wait_alu 0xf1ff
	v_add_co_ci_u32_e64 v1, s2, s5, v3, s2
	global_load_b32 v35, v[2:3], off
	;; [unrolled: 4-line block ×4, first 2 shown]
	v_add_co_u32 v2, s2, v0, s4
	s_wait_alu 0xf1ff
	v_add_co_ci_u32_e64 v3, s2, s5, v1, s2
	s_delay_alu instid0(VALU_DEP_2) | instskip(SKIP_1) | instid1(VALU_DEP_2)
	v_add_co_u32 v4, s2, v2, s4
	s_wait_alu 0xf1ff
	v_add_co_ci_u32_e64 v5, s2, s5, v3, s2
	global_load_b32 v0, v[0:1], off
	global_load_b32 v1, v[2:3], off
	;; [unrolled: 1-line block ×3, first 2 shown]
	v_add_nc_u32_e32 v3, 0x400, v31
	v_add_nc_u32_e32 v4, 0x600, v31
	s_wait_loadcnt 0x1f
	v_lshrrev_b32_e32 v5, 16, v6
	s_wait_loadcnt 0x1e
	v_lshrrev_b32_e32 v38, 16, v7
	;; [unrolled: 2-line block ×17, first 2 shown]
	v_mul_f16_e32 v53, v5, v23
	s_wait_loadcnt 0xe
	v_lshrrev_b32_e32 v54, 16, v24
	v_mul_f16_e32 v56, v38, v24
	v_mul_f16_e32 v5, v5, v49
	v_fma_f16 v49, v6, v49, -v53
	s_delay_alu instid0(VALU_DEP_2)
	v_fmac_f16_e32 v5, v6, v23
	v_mul_f16_e32 v6, v38, v54
	v_fma_f16 v38, v7, v54, -v56
	s_wait_loadcnt 0xd
	v_lshrrev_b32_e32 v23, 16, v25
	v_mul_f16_e32 v53, v39, v25
	v_fmac_f16_e32 v6, v7, v24
	s_wait_loadcnt 0xc
	v_lshrrev_b32_e32 v24, 16, v26
	v_pack_b32_f16 v5, v5, v49
	v_mul_f16_e32 v7, v39, v23
	v_mul_f16_e32 v39, v40, v26
	v_fma_f16 v23, v8, v23, -v53
	v_pack_b32_f16 v6, v6, v38
	s_delay_alu instid0(VALU_DEP_4)
	v_fmac_f16_e32 v7, v8, v25
	v_mul_f16_e32 v8, v40, v24
	s_wait_loadcnt 0xb
	v_lshrrev_b32_e32 v25, 16, v27
	v_fma_f16 v24, v9, v24, -v39
	v_mul_f16_e32 v38, v41, v27
	ds_store_2addr_b32 v31, v5, v6 offset1:50
	v_pack_b32_f16 v5, v7, v23
	v_fmac_f16_e32 v8, v9, v26
	v_mul_f16_e32 v6, v41, v25
	s_wait_loadcnt 0xa
	v_lshrrev_b32_e32 v7, 16, v28
	v_mul_f16_e32 v9, v42, v28
	v_fma_f16 v23, v10, v25, -v38
	v_pack_b32_f16 v8, v8, v24
	v_fmac_f16_e32 v6, v10, v27
	v_mul_f16_e32 v10, v42, v7
	v_fma_f16 v7, v11, v7, -v9
	s_wait_loadcnt 0x9
	v_lshrrev_b32_e32 v9, 16, v29
	ds_store_2addr_b32 v31, v5, v8 offset0:100 offset1:150
	v_mul_f16_e32 v24, v43, v29
	v_fmac_f16_e32 v10, v11, v28
	s_wait_loadcnt 0x8
	v_lshrrev_b32_e32 v8, 16, v30
	v_pack_b32_f16 v5, v6, v23
	v_mul_f16_e32 v6, v43, v9
	v_mul_f16_e32 v11, v44, v30
	v_pack_b32_f16 v7, v10, v7
	v_mul_f16_e32 v10, v44, v8
	v_fma_f16 v9, v12, v9, -v24
	v_fmac_f16_e32 v6, v12, v29
	v_fma_f16 v8, v13, v8, -v11
	s_wait_loadcnt 0x7
	v_lshrrev_b32_e32 v11, 16, v33
	v_mul_f16_e32 v12, v45, v33
	ds_store_2addr_b32 v31, v5, v7 offset0:200 offset1:250
	v_fmac_f16_e32 v10, v13, v30
	s_wait_loadcnt 0x6
	v_lshrrev_b32_e32 v7, 16, v34
	v_pack_b32_f16 v5, v6, v9
	v_mul_f16_e32 v6, v45, v11
	v_fma_f16 v9, v14, v11, -v12
	v_mul_f16_e32 v11, v46, v34
	v_pack_b32_f16 v8, v10, v8
	v_mul_f16_e32 v10, v46, v7
	v_fmac_f16_e32 v6, v14, v33
	s_wait_loadcnt 0x5
	v_lshrrev_b32_e32 v12, 16, v35
	v_fma_f16 v7, v15, v7, -v11
	v_mul_f16_e32 v11, v47, v35
	v_fmac_f16_e32 v10, v15, v34
	s_wait_loadcnt 0x4
	v_lshrrev_b32_e32 v13, 16, v36
	v_pack_b32_f16 v6, v6, v9
	v_mul_f16_e32 v9, v47, v12
	v_fma_f16 v11, v17, v12, -v11
	v_mul_f16_e32 v12, v48, v36
	v_pack_b32_f16 v7, v10, v7
	v_mul_f16_e32 v10, v48, v13
	v_fmac_f16_e32 v9, v17, v35
	s_wait_loadcnt 0x3
	v_lshrrev_b32_e32 v14, 16, v37
	v_mul_f16_e32 v15, v50, v37
	v_fma_f16 v12, v18, v13, -v12
	v_fmac_f16_e32 v10, v18, v36
	v_pack_b32_f16 v9, v9, v11
	v_mul_f16_e32 v11, v50, v14
	v_fma_f16 v13, v19, v14, -v15
	s_wait_loadcnt 0x2
	v_lshrrev_b32_e32 v14, 16, v0
	v_mul_f16_e32 v15, v51, v0
	v_pack_b32_f16 v10, v10, v12
	s_wait_loadcnt 0x1
	v_lshrrev_b32_e32 v12, 16, v1
	s_wait_loadcnt 0x0
	v_lshrrev_b32_e32 v17, 16, v2
	v_mul_f16_e32 v18, v51, v14
	v_fmac_f16_e32 v11, v19, v37
	v_fma_f16 v14, v20, v14, -v15
	v_mul_f16_e32 v15, v52, v1
	v_mul_f16_e32 v19, v52, v12
	;; [unrolled: 1-line block ×4, first 2 shown]
	v_fmac_f16_e32 v18, v20, v0
	v_fma_f16 v0, v21, v12, -v15
	v_fmac_f16_e32 v19, v21, v1
	v_fmac_f16_e32 v23, v22, v2
	v_fma_f16 v1, v22, v17, -v24
	v_pack_b32_f16 v2, v11, v13
	v_pack_b32_f16 v11, v18, v14
	v_add_nc_u32_e32 v12, 0x800, v31
	v_pack_b32_f16 v0, v19, v0
	v_pack_b32_f16 v1, v23, v1
	ds_store_2addr_b32 v3, v5, v8 offset0:44 offset1:94
	ds_store_2addr_b32 v3, v6, v7 offset0:144 offset1:194
	;; [unrolled: 1-line block ×5, first 2 shown]
.LBB0_3:
	s_or_b32 exec_lo, exec_lo, s3
	s_clause 0x1
	s_load_b64 s[4:5], s[0:1], 0x20
	s_load_b64 s[2:3], s[0:1], 0x8
	global_wb scope:SCOPE_SE
	s_wait_dscnt 0x0
	s_wait_kmcnt 0x0
	s_barrier_signal -1
	s_barrier_wait -1
	global_inv scope:SCOPE_SE
                                        ; implicit-def: $vgpr0
                                        ; implicit-def: $vgpr14
                                        ; implicit-def: $vgpr4
                                        ; implicit-def: $vgpr12
                                        ; implicit-def: $vgpr2
                                        ; implicit-def: $vgpr10
                                        ; implicit-def: $vgpr6
                                        ; implicit-def: $vgpr8
	s_and_saveexec_b32 s0, vcc_lo
	s_cbranch_execz .LBB0_5
; %bb.4:
	v_add_nc_u32_e32 v8, 0x400, v31
	v_add_nc_u32_e32 v9, 0x600, v31
	v_add_nc_u32_e32 v17, 0x800, v31
	ds_load_2addr_b32 v[0:1], v31 offset1:50
	ds_load_2addr_b32 v[2:3], v31 offset0:100 offset1:150
	ds_load_2addr_b32 v[4:5], v31 offset0:200 offset1:250
	;; [unrolled: 1-line block ×7, first 2 shown]
.LBB0_5:
	s_wait_alu 0xfffe
	s_or_b32 exec_lo, exec_lo, s0
	s_wait_dscnt 0x1
	v_pk_add_f16 v12, v4, v12 neg_lo:[0,1] neg_hi:[0,1]
	v_pk_add_f16 v14, v0, v14 neg_lo:[0,1] neg_hi:[0,1]
	v_pk_add_f16 v10, v2, v10 neg_lo:[0,1] neg_hi:[0,1]
	s_wait_dscnt 0x0
	v_pk_add_f16 v17, v6, v8 neg_lo:[0,1] neg_hi:[0,1]
	v_pk_add_f16 v13, v5, v13 neg_lo:[0,1] neg_hi:[0,1]
	v_lshrrev_b32_e32 v8, 16, v12
	v_lshrrev_b32_e32 v18, 16, v14
	v_pk_add_f16 v21, v7, v9 neg_lo:[0,1] neg_hi:[0,1]
	v_lshrrev_b32_e32 v19, 16, v17
	v_pk_add_f16 v15, v1, v15 neg_lo:[0,1] neg_hi:[0,1]
	v_sub_f16_e32 v20, v14, v8
	v_lshrrev_b32_e32 v8, 16, v10
	v_add_f16_e32 v22, v12, v18
	v_pk_add_f16 v11, v3, v11 neg_lo:[0,1] neg_hi:[0,1]
	v_sub_f16_e32 v19, v10, v19
	v_lshrrev_b32_e32 v24, 16, v13
	v_add_f16_e32 v23, v17, v8
	v_fma_f16 v18, v18, 2.0, -v22
	v_lshrrev_b32_e32 v28, 16, v21
	v_fma_f16 v9, v14, 2.0, -v20
	v_lshrrev_b32_e32 v25, 16, v15
	v_fma_f16 v8, v8, 2.0, -v23
	v_fma_f16 v26, v10, 2.0, -v19
	v_sub_f16_e32 v24, v15, v24
	v_lshrrev_b32_e32 v29, 16, v11
	v_sub_f16_e32 v28, v11, v28
	v_fmamk_f16 v33, v8, 0xb9a8, v18
	v_pk_fma_f16 v2, v2, 2.0, v10 op_sel_hi:[1,0,1] neg_lo:[0,0,1] neg_hi:[0,0,1]
	v_pk_fma_f16 v6, v6, 2.0, v17 op_sel_hi:[1,0,1] neg_lo:[0,0,1] neg_hi:[0,0,1]
	v_add_f16_e32 v27, v13, v25
	v_fmamk_f16 v30, v26, 0xb9a8, v9
	v_fma_f16 v34, v15, 2.0, -v24
	v_add_f16_e32 v35, v21, v29
	v_fmac_f16_e32 v33, 0x39a8, v26
	v_fma_f16 v26, v11, 2.0, -v28
	v_fmamk_f16 v37, v23, 0x39a8, v22
	v_pk_fma_f16 v10, v1, 2.0, v15 op_sel_hi:[1,0,1] neg_lo:[0,0,1] neg_hi:[0,0,1]
	v_pk_fma_f16 v1, v5, 2.0, v13 op_sel_hi:[1,0,1] neg_lo:[0,0,1] neg_hi:[0,0,1]
	v_pk_add_f16 v5, v2, v6 neg_lo:[0,1] neg_hi:[0,1]
	v_pk_fma_f16 v3, v3, 2.0, v11 op_sel_hi:[1,0,1] neg_lo:[0,0,1] neg_hi:[0,0,1]
	v_pk_fma_f16 v6, v7, 2.0, v21 op_sel_hi:[1,0,1] neg_lo:[0,0,1] neg_hi:[0,0,1]
	v_fma_f16 v25, v25, 2.0, -v27
	v_fma_f16 v29, v29, 2.0, -v35
	v_fmamk_f16 v36, v19, 0x39a8, v20
	v_pk_fma_f16 v0, v0, 2.0, v14 op_sel_hi:[1,0,1] neg_lo:[0,0,1] neg_hi:[0,0,1]
	v_pk_fma_f16 v4, v4, 2.0, v12 op_sel_hi:[1,0,1] neg_lo:[0,0,1] neg_hi:[0,0,1]
	v_fmac_f16_e32 v37, 0x39a8, v19
	v_pk_add_f16 v6, v3, v6 neg_lo:[0,1] neg_hi:[0,1]
	v_fmamk_f16 v21, v26, 0xb9a8, v34
	v_fmac_f16_e32 v30, 0xb9a8, v8
	v_fmac_f16_e32 v36, 0xb9a8, v23
	v_pk_add_f16 v4, v0, v4 neg_lo:[0,1] neg_hi:[0,1]
	v_pk_fma_f16 v14, v3, 2.0, v6 op_sel_hi:[1,0,1] neg_lo:[0,0,1] neg_hi:[0,0,1]
	v_fma_f16 v3, v22, 2.0, -v37
	v_fmamk_f16 v22, v29, 0xb9a8, v25
	v_fmac_f16_e32 v21, 0xb9a8, v29
	v_fmamk_f16 v23, v28, 0x39a8, v24
	v_fma_f16 v8, v9, 2.0, -v30
	v_pk_fma_f16 v7, v0, 2.0, v4 op_sel_hi:[1,0,1] neg_lo:[0,0,1] neg_hi:[0,0,1]
	v_pk_fma_f16 v0, v2, 2.0, v5 op_sel_hi:[1,0,1] neg_lo:[0,0,1] neg_hi:[0,0,1]
	v_lshrrev_b32_e32 v13, 16, v4
	v_fmac_f16_e32 v22, 0x39a8, v26
	v_fma_f16 v19, v34, 2.0, -v21
	v_fmamk_f16 v29, v35, 0x39a8, v27
	v_fmac_f16_e32 v23, 0xb9a8, v35
	v_fma_f16 v9, v18, 2.0, -v33
	v_pk_add_f16 v11, v10, v1 neg_lo:[0,1] neg_hi:[0,1]
	v_fma_f16 v1, v20, 2.0, -v36
	v_pk_add_f16 v0, v7, v0 neg_lo:[0,1] neg_hi:[0,1]
	v_lshrrev_b32_e32 v12, 16, v5
	v_add_f16_e32 v15, v5, v13
	v_fma_f16 v18, v25, 2.0, -v22
	v_fmac_f16_e32 v29, 0x39a8, v28
	v_fma_f16 v25, v24, 2.0, -v23
	v_fmamk_f16 v24, v19, 0xbb64, v8
	v_pk_fma_f16 v2, v7, 2.0, v0 op_sel_hi:[1,0,1] neg_lo:[0,0,1] neg_hi:[0,0,1]
	v_sub_f16_e32 v7, v4, v12
	v_fma_f16 v5, v13, 2.0, -v15
	v_lshrrev_b32_e32 v12, 16, v6
	v_lshrrev_b32_e32 v13, 16, v11
	v_fma_f16 v20, v27, 2.0, -v29
	v_fmamk_f16 v55, v18, 0xbb64, v9
	v_fmac_f16_e32 v24, 0xb61f, v18
	v_fmamk_f16 v18, v25, 0xb61f, v1
	v_pk_fma_f16 v10, v10, 2.0, v11 op_sel_hi:[1,0,1] neg_lo:[0,0,1] neg_hi:[0,0,1]
	v_sub_f16_e32 v34, v11, v12
	v_add_f16_e32 v6, v6, v13
	v_fmamk_f16 v49, v20, 0xb61f, v3
	v_fmac_f16_e32 v18, 0xbb64, v20
	v_fmamk_f16 v20, v21, 0x361f, v30
	v_fmamk_f16 v51, v22, 0x361f, v33
	v_pk_add_f16 v14, v10, v14 neg_lo:[0,1] neg_hi:[0,1]
	v_fma_f16 v4, v4, 2.0, -v7
	v_fma_f16 v11, v11, 2.0, -v34
	;; [unrolled: 1-line block ×3, first 2 shown]
	v_fmac_f16_e32 v20, 0xbb64, v22
	v_fmac_f16_e32 v51, 0x3b64, v21
	v_fmamk_f16 v21, v34, 0x39a8, v7
	v_fmamk_f16 v53, v6, 0x39a8, v15
	;; [unrolled: 1-line block ×4, first 2 shown]
	v_pk_fma_f16 v10, v10, 2.0, v14 op_sel_hi:[1,0,1] neg_lo:[0,0,1] neg_hi:[0,0,1]
	v_fmamk_f16 v17, v11, 0xb9a8, v4
	v_fmamk_f16 v50, v13, 0xb9a8, v5
	v_fmac_f16_e32 v21, 0xb9a8, v6
	v_fmac_f16_e32 v53, 0x39a8, v34
	;; [unrolled: 1-line block ×4, first 2 shown]
	v_pk_add_f16 v12, v2, v10 neg_lo:[0,1] neg_hi:[0,1]
	v_fmac_f16_e32 v55, 0x361f, v19
	v_fmac_f16_e32 v17, 0xb9a8, v13
	;; [unrolled: 1-line block ×4, first 2 shown]
	v_pk_add_f16 v19, v0, v14 op_sel:[0,1] op_sel_hi:[1,0] neg_lo:[0,1] neg_hi:[0,1]
	v_pk_add_f16 v54, v0, v14 op_sel:[0,1] op_sel_hi:[1,0]
	v_fma_f16 v26, v30, 2.0, -v20
	v_fma_f16 v56, v33, 2.0, -v51
	;; [unrolled: 1-line block ×6, first 2 shown]
	v_lshlrev_b16 v34, 4, v32
	global_wb scope:SCOPE_SE
	s_barrier_signal -1
	s_barrier_wait -1
	global_inv scope:SCOPE_SE
	s_and_saveexec_b32 s0, vcc_lo
	s_cbranch_execz .LBB0_7
; %bb.6:
	v_fma_f16 v7, v1, 2.0, -v18
	v_fma_f16 v3, v3, 2.0, -v49
	v_and_b32_e32 v1, 0xffff, v34
	v_fma_f16 v10, v4, 2.0, -v17
	v_fma_f16 v5, v5, 2.0, -v50
	;; [unrolled: 1-line block ×4, first 2 shown]
	v_bfi_b32 v6, 0xffff, v19, v54
	v_lshlrev_b32_e32 v11, 2, v1
	v_pk_fma_f16 v1, v2, 2.0, v12 op_sel_hi:[1,0,1] neg_lo:[0,0,1] neg_hi:[0,0,1]
	v_pack_b32_f16 v4, v7, v3
	v_pack_b32_f16 v3, v10, v5
	;; [unrolled: 1-line block ×3, first 2 shown]
	v_pk_fma_f16 v35, v0, 2.0, v6 op_sel_hi:[1,0,1] neg_lo:[0,0,1] neg_hi:[0,0,1]
	v_perm_b32 v38, v58, v30, 0x5040100
	v_perm_b32 v37, v57, v29, 0x5040100
	;; [unrolled: 1-line block ×9, first 2 shown]
	ds_store_b128 v11, v[1:4]
	ds_store_b128 v11, v[35:38] offset:16
	ds_store_b128 v11, v[12:15] offset:32
	;; [unrolled: 1-line block ×3, first 2 shown]
.LBB0_7:
	s_wait_alu 0xfffe
	s_or_b32 exec_lo, exec_lo, s0
	v_and_b32_e32 v7, 15, v32
	s_load_b128 s[4:7], s[4:5], 0x0
	global_wb scope:SCOPE_SE
	s_wait_dscnt 0x0
	s_wait_kmcnt 0x0
	s_barrier_signal -1
	s_barrier_wait -1
	v_lshlrev_b32_e32 v0, 4, v7
	global_inv scope:SCOPE_SE
	v_add_nc_u32_e32 v4, 0x400, v31
	v_lshrrev_b32_e32 v9, 4, v32
	v_cmp_gt_u16_e64 s0, 0x50, v32
	global_load_b128 v[0:3], v0, s[2:3]
	ds_load_2addr_b32 v[13:14], v31 offset1:160
	ds_load_b32 v8, v31 offset:2560
	ds_load_2addr_b32 v[5:6], v4 offset0:64 offset1:224
	global_wb scope:SCOPE_SE
	s_wait_loadcnt_dscnt 0x0
	v_mul_u32_u24_e32 v9, 0x50, v9
	s_barrier_signal -1
	s_barrier_wait -1
	global_inv scope:SCOPE_SE
	v_or_b32_e32 v7, v9, v7
	s_delay_alu instid0(VALU_DEP_1)
	v_lshlrev_b32_e32 v33, 2, v7
	v_lshrrev_b32_e32 v7, 16, v14
	v_lshrrev_b32_e32 v9, 16, v8
	;; [unrolled: 1-line block ×9, first 2 shown]
	s_delay_alu instid0(VALU_DEP_4)
	v_mul_f16_e32 v25, v10, v46
	v_mul_f16_e32 v27, v5, v46
	;; [unrolled: 1-line block ×8, first 2 shown]
	v_fma_f16 v5, v5, v1, -v25
	v_fmac_f16_e32 v27, v10, v1
	v_fma_f16 v6, v6, v2, -v28
	v_fmac_f16_e32 v35, v11, v2
	;; [unrolled: 2-line block ×3, first 2 shown]
	v_fmac_f16_e32 v37, v9, v3
	v_fma_f16 v7, v8, v3, -v36
	v_add_f16_e32 v9, v5, v6
	v_add_f16_e32 v41, v27, v35
	;; [unrolled: 1-line block ×5, first 2 shown]
	v_sub_f16_e32 v10, v23, v37
	v_sub_f16_e32 v15, v14, v5
	;; [unrolled: 1-line block ×4, first 2 shown]
	v_add_f16_e32 v40, v60, v23
	v_sub_f16_e32 v42, v14, v7
	v_sub_f16_e32 v14, v23, v27
	;; [unrolled: 1-line block ×4, first 2 shown]
	v_fma_f16 v25, -0.5, v9, v13
	v_fma_f16 v61, -0.5, v41, v60
	v_sub_f16_e32 v11, v27, v35
	v_sub_f16_e32 v43, v5, v6
	;; [unrolled: 1-line block ×3, first 2 shown]
	v_fmac_f16_e32 v13, -0.5, v36
	v_fmac_f16_e32 v60, -0.5, v59
	v_add_f16_e32 v5, v8, v5
	v_add_f16_e32 v8, v15, v28
	;; [unrolled: 1-line block ×4, first 2 shown]
	v_fmamk_f16 v28, v10, 0x3b9c, v25
	v_fmamk_f16 v62, v42, 0xbb9c, v61
	v_sub_f16_e32 v39, v6, v7
	v_add_f16_e32 v36, v14, v44
	v_fmamk_f16 v14, v11, 0xbb9c, v13
	v_fmac_f16_e32 v13, 0x3b9c, v11
	v_fmamk_f16 v63, v43, 0x3b9c, v60
	v_fmac_f16_e32 v60, 0xbb9c, v43
	v_fmac_f16_e32 v25, 0xbb9c, v10
	;; [unrolled: 1-line block ×3, first 2 shown]
	v_add_f16_e32 v5, v5, v6
	v_add_f16_e32 v6, v15, v35
	v_fmac_f16_e32 v28, 0x38b4, v11
	v_fmac_f16_e32 v62, 0xb8b4, v43
	v_add_f16_e32 v9, v38, v39
	v_fmac_f16_e32 v14, 0x38b4, v10
	v_fmac_f16_e32 v13, 0xb8b4, v10
	;; [unrolled: 1-line block ×6, first 2 shown]
	v_add_f16_e32 v27, v5, v7
	v_add_f16_e32 v59, v6, v37
	v_fmac_f16_e32 v28, 0x34f2, v8
	v_fmac_f16_e32 v62, 0x34f2, v36
	;; [unrolled: 1-line block ×8, first 2 shown]
	v_pack_b32_f16 v5, v27, v59
	v_pack_b32_f16 v6, v28, v62
	;; [unrolled: 1-line block ×5, first 2 shown]
	ds_store_2addr_b32 v33, v5, v6 offset1:16
	ds_store_2addr_b32 v33, v7, v8 offset0:32 offset1:48
	ds_store_b32 v33, v9 offset:256
	global_wb scope:SCOPE_SE
	s_wait_dscnt 0x0
	s_barrier_signal -1
	s_barrier_wait -1
	global_inv scope:SCOPE_SE
	s_and_saveexec_b32 s1, s0
	s_cbranch_execz .LBB0_9
; %bb.8:
	ds_load_2addr_b32 v[27:28], v31 offset1:80
	ds_load_2addr_b32 v[14:15], v31 offset0:160 offset1:240
	v_add_nc_u32_e32 v5, 0x600, v31
	v_add_nc_u32_e32 v6, 0x800, v31
	s_wait_dscnt 0x1
	v_lshrrev_b32_e32 v59, 16, v27
	s_wait_dscnt 0x0
	v_mov_b32_e32 v13, v15
	ds_load_2addr_b32 v[25:26], v4 offset0:64 offset1:144
	ds_load_2addr_b32 v[29:30], v5 offset0:96 offset1:176
	;; [unrolled: 1-line block ×3, first 2 shown]
	v_lshrrev_b32_e32 v62, 16, v28
	v_lshrrev_b32_e32 v63, 16, v14
	;; [unrolled: 1-line block ×3, first 2 shown]
	s_wait_dscnt 0x2
	v_lshrrev_b32_e32 v61, 16, v25
	v_lshrrev_b32_e32 v56, 16, v26
	s_wait_dscnt 0x1
	v_lshrrev_b32_e32 v57, 16, v29
	v_lshrrev_b32_e32 v58, 16, v30
	s_wait_dscnt 0x0
	v_lshrrev_b32_e32 v55, 16, v24
	v_mov_b32_e32 v12, v23
.LBB0_9:
	s_wait_alu 0xfffe
	s_or_b32 exec_lo, exec_lo, s1
	v_add_nc_u32_e32 v4, 0xffffffb0, v32
	s_delay_alu instid0(VALU_DEP_2) | instskip(NEXT) | instid1(VALU_DEP_2)
	v_lshrrev_b32_e32 v15, 16, v12
	v_cndmask_b32_e64 v4, v4, v32, s0
	s_delay_alu instid0(VALU_DEP_1) | instskip(SKIP_1) | instid1(VALU_DEP_2)
	v_mul_i32_i24_e32 v5, 36, v4
	v_mul_hi_i32_i24_e32 v4, 36, v4
	v_add_co_u32 v35, s1, s2, v5
	s_wait_alu 0xf1ff
	s_delay_alu instid0(VALU_DEP_2)
	v_add_co_ci_u32_e64 v36, s1, s3, v4, s1
	s_clause 0x2
	global_load_b128 v[4:7], v[35:36], off offset:256
	global_load_b128 v[8:11], v[35:36], off offset:272
	global_load_b32 v35, v[35:36], off offset:288
	s_wait_loadcnt 0x2
	v_lshrrev_b32_e32 v37, 16, v4
	v_lshrrev_b32_e32 v43, 16, v5
	;; [unrolled: 1-line block ×4, first 2 shown]
	s_wait_loadcnt 0x1
	v_lshrrev_b32_e32 v40, 16, v8
	v_lshrrev_b32_e32 v41, 16, v9
	;; [unrolled: 1-line block ×4, first 2 shown]
	s_wait_loadcnt 0x0
	v_lshrrev_b32_e32 v38, 16, v35
	v_mul_f16_e32 v23, v62, v37
	v_mul_f16_e32 v64, v28, v37
	;; [unrolled: 1-line block ×18, first 2 shown]
	v_fma_f16 v23, v28, v4, -v23
	v_fmac_f16_e32 v64, v62, v4
	v_fma_f16 v14, v14, v5, -v65
	v_fmac_f16_e32 v66, v63, v5
	;; [unrolled: 2-line block ×9, first 2 shown]
	v_add_f16_e32 v24, v27, v14
	v_add_f16_e32 v30, v25, v28
	v_sub_f16_e32 v55, v66, v78
	v_sub_f16_e32 v57, v14, v25
	;; [unrolled: 1-line block ×3, first 2 shown]
	v_add_f16_e32 v60, v14, v12
	v_sub_f16_e32 v61, v25, v14
	v_sub_f16_e32 v62, v28, v12
	v_add_f16_e32 v63, v59, v66
	v_sub_f16_e32 v69, v66, v70
	v_sub_f16_e32 v71, v78, v74
	;; [unrolled: 3-line block ×3, first 2 shown]
	v_add_f16_e32 v77, v23, v13
	v_add_f16_e32 v79, v26, v29
	;; [unrolled: 1-line block ×7, first 2 shown]
	v_sub_f16_e32 v67, v25, v28
	v_sub_f16_e32 v81, v68, v80
	;; [unrolled: 1-line block ×7, first 2 shown]
	v_add_f16_e32 v24, v24, v25
	v_fma_f16 v95, -0.5, v30, v27
	v_add_f16_e32 v25, v57, v58
	v_fmac_f16_e32 v27, -0.5, v60
	v_add_f16_e32 v30, v61, v62
	v_add_f16_e32 v57, v63, v70
	;; [unrolled: 1-line block ×5, first 2 shown]
	v_fma_f16 v61, -0.5, v79, v23
	v_fmac_f16_e32 v23, -0.5, v85
	v_add_f16_e32 v66, v88, v72
	v_fma_f16 v69, -0.5, v89, v64
	v_fmac_f16_e32 v64, -0.5, v93
	v_sub_f16_e32 v56, v70, v74
	v_sub_f16_e32 v84, v15, v29
	;; [unrolled: 1-line block ×7, first 2 shown]
	v_fma_f16 v63, -0.5, v65, v59
	v_fmac_f16_e32 v59, -0.5, v73
	v_add_f16_e32 v57, v57, v74
	v_add_f16_e32 v26, v26, v29
	v_fmamk_f16 v74, v81, 0x3b9c, v61
	v_fmac_f16_e32 v61, 0xbb9c, v81
	v_fmamk_f16 v75, v82, 0xbb9c, v23
	v_fmac_f16_e32 v23, 0x3b9c, v82
	v_add_f16_e32 v29, v66, v76
	v_fmamk_f16 v66, v13, 0xbb9c, v69
	v_fmac_f16_e32 v69, 0x3b9c, v13
	v_fmamk_f16 v76, v90, 0x3b9c, v64
	v_fmac_f16_e32 v64, 0xbb9c, v90
	v_sub_f16_e32 v14, v14, v12
	v_add_f16_e32 v62, v83, v84
	v_add_f16_e32 v65, v86, v87
	;; [unrolled: 1-line block ×5, first 2 shown]
	v_fmamk_f16 v28, v55, 0x3b9c, v95
	v_fmac_f16_e32 v95, 0xbb9c, v55
	v_fmamk_f16 v71, v56, 0xbb9c, v27
	v_fmac_f16_e32 v27, 0x3b9c, v56
	;; [unrolled: 2-line block ×3, first 2 shown]
	v_fmac_f16_e32 v74, 0x38b4, v82
	v_fmac_f16_e32 v61, 0xb8b4, v82
	;; [unrolled: 1-line block ×8, first 2 shown]
	v_fmamk_f16 v72, v14, 0xbb9c, v63
	v_fmac_f16_e32 v63, 0x3b9c, v14
	v_add_f16_e32 v24, v24, v12
	v_fmac_f16_e32 v28, 0x38b4, v56
	v_fmac_f16_e32 v95, 0xb8b4, v56
	v_fmac_f16_e32 v71, 0x38b4, v55
	v_fmac_f16_e32 v27, 0xb8b4, v55
	v_add_f16_e32 v55, v57, v78
	v_fmac_f16_e32 v73, 0xb8b4, v14
	v_fmac_f16_e32 v59, 0x38b4, v14
	v_add_f16_e32 v14, v26, v15
	v_add_f16_e32 v26, v29, v80
	v_fmac_f16_e32 v74, 0x34f2, v62
	v_fmac_f16_e32 v61, 0x34f2, v62
	;; [unrolled: 1-line block ×14, first 2 shown]
	v_add_f16_e32 v12, v24, v14
	v_add_f16_e32 v30, v55, v26
	v_sub_f16_e32 v15, v24, v14
	v_sub_f16_e32 v29, v55, v26
	v_mul_f16_e32 v25, 0x38b4, v66
	v_mul_f16_e32 v26, 0x3b9c, v76
	v_mul_f16_e32 v13, 0x34f2, v23
	v_mul_f16_e32 v14, 0x3a79, v61
	v_mul_f16_e32 v56, 0xb8b4, v74
	v_mul_f16_e32 v62, 0xbb9c, v75
	v_mul_f16_e32 v24, 0x34f2, v64
	v_mul_f16_e32 v55, 0x3a79, v69
	v_fmac_f16_e32 v72, 0x34f2, v58
	v_fmac_f16_e32 v63, 0x34f2, v58
	;; [unrolled: 1-line block ×6, first 2 shown]
	v_fma_f16 v60, v64, 0x3b9c, -v13
	v_fma_f16 v64, v69, 0x38b4, -v14
	v_fmac_f16_e32 v56, 0x3a79, v66
	v_fmac_f16_e32 v62, 0x34f2, v76
	v_fma_f16 v65, v23, 0xbb9c, -v24
	v_fma_f16 v66, v61, 0xb8b4, -v55
	v_add_f16_e32 v13, v28, v25
	v_add_f16_e32 v23, v71, v26
	;; [unrolled: 1-line block ×8, first 2 shown]
	v_sub_f16_e32 v25, v28, v25
	v_sub_f16_e32 v26, v71, v26
	;; [unrolled: 1-line block ×8, first 2 shown]
	s_and_saveexec_b32 s1, s0
	s_cbranch_execz .LBB0_11
; %bb.10:
	v_perm_b32 v63, v30, v12, 0x5040100
	v_perm_b32 v64, v57, v13, 0x5040100
	;; [unrolled: 1-line block ×6, first 2 shown]
	v_add_nc_u32_e32 v69, 0x400, v31
	v_perm_b32 v70, v60, v25, 0x5040100
	v_perm_b32 v71, v56, v26, 0x5040100
	v_add_nc_u32_e32 v72, 0x600, v31
	v_perm_b32 v73, v62, v27, 0x5040100
	v_perm_b32 v74, v59, v28, 0x5040100
	v_add_nc_u32_e32 v75, 0x800, v31
	ds_store_2addr_b32 v31, v63, v64 offset1:80
	ds_store_2addr_b32 v31, v65, v66 offset0:160 offset1:240
	ds_store_2addr_b32 v69, v67, v68 offset0:64 offset1:144
	;; [unrolled: 1-line block ×4, first 2 shown]
.LBB0_11:
	s_wait_alu 0xfffe
	s_or_b32 exec_lo, exec_lo, s1
	global_wb scope:SCOPE_SE
	s_wait_dscnt 0x0
	s_barrier_signal -1
	s_barrier_wait -1
	global_inv scope:SCOPE_SE
	s_and_saveexec_b32 s1, vcc_lo
	s_cbranch_execz .LBB0_13
; %bb.12:
	global_load_b32 v63, v31, s[20:21] offset:3200
	s_add_nc_u64 s[2:3], s[20:21], 0xc80
	s_clause 0xe
	global_load_b32 v64, v31, s[2:3] offset:3000
	global_load_b32 v77, v31, s[2:3] offset:200
	;; [unrolled: 1-line block ×15, first 2 shown]
	ds_load_b32 v65, v31
	ds_load_b32 v66, v31 offset:3000
	v_add_nc_u32_e32 v91, 0x200, v31
	v_add_nc_u32_e32 v92, 0x400, v31
	;; [unrolled: 1-line block ×3, first 2 shown]
	s_wait_dscnt 0x1
	v_lshrrev_b32_e32 v67, 16, v65
	s_wait_dscnt 0x0
	v_lshrrev_b32_e32 v69, 16, v66
	s_wait_loadcnt 0xe
	v_lshrrev_b32_e32 v70, 16, v64
	s_wait_loadcnt 0xd
	;; [unrolled: 2-line block ×5, first 2 shown]
	v_lshrrev_b32_e32 v98, 16, v80
	v_mul_f16_e32 v72, v69, v70
	v_mul_f16_e32 v70, v66, v70
	s_wait_loadcnt 0x9
	v_lshrrev_b32_e32 v99, 16, v81
	s_wait_loadcnt 0x8
	v_lshrrev_b32_e32 v100, 16, v82
	;; [unrolled: 2-line block ×4, first 2 shown]
	v_lshrrev_b32_e32 v68, 16, v63
	v_fmac_f16_e32 v70, v69, v64
	s_wait_loadcnt 0x5
	v_lshrrev_b32_e32 v103, 16, v85
	s_wait_loadcnt 0x4
	v_lshrrev_b32_e32 v104, 16, v86
	;; [unrolled: 2-line block ×3, first 2 shown]
	v_mul_f16_e32 v71, v67, v68
	v_mul_f16_e32 v68, v65, v68
	s_wait_loadcnt 0x2
	v_lshrrev_b32_e32 v106, 16, v88
	s_wait_loadcnt 0x1
	v_lshrrev_b32_e32 v107, 16, v89
	;; [unrolled: 2-line block ×3, first 2 shown]
	v_fma_f16 v65, v65, v63, -v71
	v_fmac_f16_e32 v68, v67, v63
	v_fma_f16 v63, v66, v64, -v72
	s_delay_alu instid0(VALU_DEP_2) | instskip(NEXT) | instid1(VALU_DEP_2)
	v_pack_b32_f16 v64, v65, v68
	v_pack_b32_f16 v95, v63, v70
	ds_store_b32 v31, v64
	ds_load_2addr_b32 v[63:64], v31 offset0:50 offset1:100
	ds_load_2addr_b32 v[65:66], v31 offset0:150 offset1:200
	;; [unrolled: 1-line block ×7, first 2 shown]
	s_wait_dscnt 0x6
	v_lshrrev_b32_e32 v109, 16, v63
	v_lshrrev_b32_e32 v111, 16, v64
	s_wait_dscnt 0x5
	v_lshrrev_b32_e32 v113, 16, v65
	v_lshrrev_b32_e32 v115, 16, v66
	;; [unrolled: 3-line block ×5, first 2 shown]
	v_mul_f16_e32 v110, v63, v94
	v_mul_f16_e32 v112, v64, v96
	s_wait_dscnt 0x1
	v_lshrrev_b32_e32 v129, 16, v73
	v_lshrrev_b32_e32 v131, 16, v74
	s_wait_dscnt 0x0
	v_lshrrev_b32_e32 v133, 16, v75
	v_lshrrev_b32_e32 v135, 16, v76
	v_mul_f16_e32 v94, v109, v94
	v_mul_f16_e32 v96, v111, v96
	;; [unrolled: 1-line block ×15, first 2 shown]
	v_mul_f16_e64 v128, v72, v104
	v_mul_f16_e32 v103, v125, v103
	v_mul_f16_e32 v104, v127, v104
	v_mul_f16_e64 v130, v73, v105
	v_mul_f16_e64 v132, v74, v106
	;; [unrolled: 1-line block ×4, first 2 shown]
	v_fmac_f16_e32 v110, v109, v77
	v_fmac_f16_e32 v112, v111, v78
	v_mul_f16_e64 v105, v129, v105
	v_mul_f16_e64 v106, v131, v106
	;; [unrolled: 1-line block ×4, first 2 shown]
	v_fma_f16 v63, v63, v77, -v94
	v_fma_f16 v64, v64, v78, -v96
	v_fmac_f16_e32 v114, v113, v79
	v_fmac_f16_e32 v116, v115, v80
	v_fma_f16 v65, v65, v79, -v97
	v_fma_f16 v66, v66, v80, -v98
	v_fmac_f16_e32 v118, v117, v81
	v_fmac_f16_e32 v120, v119, v82
	;; [unrolled: 4-line block ×3, first 2 shown]
	v_fma_f16 v69, v69, v83, -v101
	v_fma_f16 v70, v70, v84, -v102
	v_fmac_f16_e32 v126, v125, v85
	v_fmac_f16_e64 v128, v127, v86
	v_fma_f16 v71, v71, v85, -v103
	v_fma_f16 v72, v72, v86, -v104
	v_fmac_f16_e64 v130, v129, v87
	v_fmac_f16_e64 v132, v131, v88
	v_fmac_f16_e64 v134, v133, v89
	v_fmac_f16_e64 v136, v135, v90
	v_fma_f16 v73, v73, v87, -v105
	v_fma_f16 v74, v74, v88, -v106
	;; [unrolled: 1-line block ×4, first 2 shown]
	v_pack_b32_f16 v63, v63, v110
	v_pack_b32_f16 v64, v64, v112
	v_pack_b32_f16 v65, v65, v114
	v_pack_b32_f16 v66, v66, v116
	v_pack_b32_f16 v67, v67, v118
	v_pack_b32_f16 v68, v68, v120
	v_pack_b32_f16 v69, v69, v122
	v_pack_b32_f16 v70, v70, v124
	v_pack_b32_f16 v71, v71, v126
	v_pack_b32_f16 v72, v72, v128
	v_pack_b32_f16 v73, v73, v130
	v_pack_b32_f16 v74, v74, v132
	v_pack_b32_f16 v75, v75, v134
	v_pack_b32_f16 v76, v76, v136
	ds_store_2addr_b32 v31, v63, v64 offset0:50 offset1:100
	ds_store_2addr_b32 v31, v65, v66 offset0:150 offset1:200
	;; [unrolled: 1-line block ×7, first 2 shown]
	ds_store_b32 v31, v95 offset:3000
.LBB0_13:
	s_wait_alu 0xfffe
	s_or_b32 exec_lo, exec_lo, s1
	v_lshrrev_b32_e32 v54, 16, v54
	global_wb scope:SCOPE_SE
	s_wait_dscnt 0x0
	s_barrier_signal -1
	s_barrier_wait -1
	global_inv scope:SCOPE_SE
	s_and_saveexec_b32 s1, vcc_lo
	s_cbranch_execz .LBB0_15
; %bb.14:
	v_add_nc_u32_e32 v17, 0x400, v31
	v_add_nc_u32_e32 v18, 0x600, v31
	;; [unrolled: 1-line block ×3, first 2 shown]
	ds_load_2addr_b32 v[12:13], v31 offset1:50
	ds_load_2addr_b32 v[23:24], v31 offset0:100 offset1:150
	ds_load_2addr_b32 v[14:15], v31 offset0:200 offset1:250
	ds_load_2addr_b32 v[25:26], v17 offset0:44 offset1:94
	ds_load_2addr_b32 v[27:28], v17 offset0:144 offset1:194
	ds_load_2addr_b32 v[17:18], v18 offset0:116 offset1:166
	ds_load_2addr_b32 v[19:20], v21 offset0:88 offset1:138
	ds_load_2addr_b32 v[21:22], v21 offset0:188 offset1:238
	s_wait_dscnt 0x6
	v_lshrrev_b32_e32 v58, 16, v23
	v_lshrrev_b32_e32 v30, 16, v12
	;; [unrolled: 1-line block ×4, first 2 shown]
	s_wait_dscnt 0x5
	v_lshrrev_b32_e32 v61, 16, v14
	v_lshrrev_b32_e32 v29, 16, v15
	s_wait_dscnt 0x4
	v_lshrrev_b32_e32 v60, 16, v25
	v_lshrrev_b32_e32 v56, 16, v26
	s_wait_dscnt 0x3
	v_lshrrev_b32_e32 v62, 16, v27
	v_lshrrev_b32_e32 v59, 16, v28
	s_wait_dscnt 0x2
	v_lshrrev_b32_e32 v50, 16, v17
	v_lshrrev_b32_e32 v49, 16, v18
	s_wait_dscnt 0x1
	v_lshrrev_b32_e32 v54, 16, v19
	v_lshrrev_b32_e32 v51, 16, v20
	s_wait_dscnt 0x0
	v_lshrrev_b32_e32 v53, 16, v21
	v_lshrrev_b32_e32 v52, 16, v22
.LBB0_15:
	s_wait_alu 0xfffe
	s_or_b32 exec_lo, exec_lo, s1
	v_sub_f16_e32 v27, v12, v27
	v_sub_f16_e32 v62, v30, v62
	v_sub_f16_e32 v63, v14, v19
	v_sub_f16_e32 v54, v61, v54
	v_sub_f16_e32 v50, v58, v50
	v_sub_f16_e32 v21, v25, v21
	v_sub_f16_e32 v53, v60, v53
	v_sub_f16_e32 v17, v23, v17
	v_fma_f16 v12, v12, 2.0, -v27
	v_fma_f16 v30, v30, 2.0, -v62
	;; [unrolled: 1-line block ×4, first 2 shown]
	v_sub_f16_e32 v64, v13, v28
	v_fma_f16 v28, v58, 2.0, -v50
	v_sub_f16_e32 v58, v57, v59
	v_fma_f16 v25, v25, 2.0, -v21
	v_fma_f16 v59, v60, 2.0, -v53
	v_sub_f16_e32 v60, v15, v20
	v_sub_f16_e32 v51, v29, v51
	;; [unrolled: 1-line block ×7, first 2 shown]
	v_fma_f16 v23, v23, 2.0, -v17
	v_fma_f16 v13, v13, 2.0, -v64
	v_sub_f16_e32 v49, v55, v49
	v_fma_f16 v15, v15, 2.0, -v60
	v_fma_f16 v66, v26, 2.0, -v22
	v_sub_f16_e32 v19, v12, v14
	v_sub_f16_e32 v14, v30, v61
	v_add_f16_e32 v26, v54, v27
	v_fma_f16 v61, v62, 2.0, -v20
	v_sub_f16_e32 v59, v28, v59
	v_add_f16_e32 v62, v53, v17
	v_fma_f16 v50, v50, 2.0, -v21
	v_add_f16_e32 v52, v51, v64
	v_add_f16_e32 v72, v65, v18
	v_fma_f16 v57, v57, 2.0, -v58
	v_fma_f16 v29, v29, 2.0, -v51
	;; [unrolled: 1-line block ×7, first 2 shown]
	v_sub_f16_e32 v25, v23, v25
	v_sub_f16_e32 v27, v13, v15
	v_fma_f16 v15, v28, 2.0, -v59
	v_fma_f16 v17, v17, 2.0, -v62
	v_sub_f16_e32 v53, v58, v60
	v_fma_f16 v67, v64, 2.0, -v52
	v_sub_f16_e32 v22, v49, v22
	v_fmamk_f16 v74, v50, 0xb9a8, v61
	v_fma_f16 v18, v18, 2.0, -v72
	v_fma_f16 v12, v12, 2.0, -v19
	;; [unrolled: 1-line block ×3, first 2 shown]
	v_sub_f16_e32 v28, v57, v29
	v_sub_f16_e32 v63, v24, v66
	;; [unrolled: 1-line block ×3, first 2 shown]
	v_fma_f16 v71, v58, 2.0, -v53
	v_fmamk_f16 v73, v17, 0xb9a8, v56
	v_sub_f16_e32 v51, v30, v15
	v_fmac_f16_e32 v74, 0xb9a8, v17
	v_fma_f16 v15, v49, 2.0, -v22
	v_fmamk_f16 v17, v18, 0xb9a8, v67
	v_fma_f16 v57, v57, 2.0, -v28
	v_fma_f16 v55, v55, 2.0, -v66
	v_sub_f16_e32 v54, v12, v23
	v_fmamk_f16 v65, v62, 0x39a8, v26
	v_fmamk_f16 v64, v21, 0x39a8, v20
	;; [unrolled: 1-line block ×3, first 2 shown]
	v_fmac_f16_e32 v17, 0x39a8, v15
	v_fmamk_f16 v69, v72, 0x39a8, v52
	v_fmamk_f16 v70, v22, 0x39a8, v53
	v_fma_f16 v13, v13, 2.0, -v27
	v_fma_f16 v24, v24, 2.0, -v63
	v_fmac_f16_e32 v73, 0x39a8, v50
	v_add_f16_e32 v60, v59, v19
	v_sub_f16_e32 v58, v14, v25
	v_fmac_f16_e32 v65, 0x39a8, v21
	v_sub_f16_e32 v68, v57, v55
	v_fmac_f16_e32 v64, 0xb9a8, v62
	v_fmac_f16_e32 v23, 0xb9a8, v18
	v_fma_f16 v18, v67, 2.0, -v17
	v_add_f16_e32 v66, v66, v27
	v_sub_f16_e32 v67, v28, v63
	v_fmac_f16_e32 v69, 0x39a8, v22
	v_fmac_f16_e32 v70, 0xb9a8, v72
	v_fma_f16 v49, v56, 2.0, -v73
	v_fma_f16 v50, v61, 2.0, -v74
	v_sub_f16_e32 v61, v13, v24
	v_fma_f16 v15, v57, 2.0, -v68
	v_fma_f16 v25, v71, 2.0, -v23
	v_fmamk_f16 v55, v17, 0x361f, v73
	v_fmamk_f16 v56, v23, 0x361f, v74
	;; [unrolled: 1-line block ×6, first 2 shown]
	v_fma_f16 v29, v12, 2.0, -v54
	v_fma_f16 v30, v30, 2.0, -v51
	;; [unrolled: 1-line block ×3, first 2 shown]
	v_fmamk_f16 v13, v18, 0xbb64, v49
	v_fmamk_f16 v21, v25, 0xbb64, v50
	v_fmac_f16_e32 v55, 0x3b64, v23
	v_fmac_f16_e32 v56, 0xbb64, v17
	;; [unrolled: 1-line block ×6, first 2 shown]
	v_sub_f16_e32 v12, v29, v12
	v_sub_f16_e32 v24, v30, v15
	v_fmac_f16_e32 v13, 0x361f, v25
	v_fmac_f16_e32 v21, 0xb61f, v18
	v_fma_f16 v15, v73, 2.0, -v55
	v_fma_f16 v23, v74, 2.0, -v56
	;; [unrolled: 1-line block ×6, first 2 shown]
	global_wb scope:SCOPE_SE
	s_barrier_signal -1
	s_barrier_wait -1
	global_inv scope:SCOPE_SE
	s_and_saveexec_b32 s1, vcc_lo
	s_cbranch_execz .LBB0_17
; %bb.16:
	v_fma_f16 v26, v26, 2.0, -v65
	v_fma_f16 v53, v53, 2.0, -v70
	;; [unrolled: 1-line block ×8, first 2 shown]
	v_fmamk_f16 v58, v52, 0xb61f, v26
	v_fmamk_f16 v60, v53, 0xb61f, v20
	v_add_f16_e32 v68, v68, v54
	v_fmamk_f16 v64, v27, 0xb9a8, v19
	v_fmamk_f16 v65, v28, 0xb9a8, v14
	v_fmac_f16_e32 v58, 0x3b64, v53
	v_fmac_f16_e32 v60, 0xbb64, v52
	v_sub_f16_e32 v61, v51, v61
	v_fmac_f16_e32 v64, 0x39a8, v28
	v_fmac_f16_e32 v65, 0xb9a8, v27
	v_fma_f16 v26, v26, 2.0, -v58
	v_fma_f16 v20, v20, 2.0, -v60
	v_and_b32_e32 v27, 0xffff, v34
	v_fma_f16 v19, v19, 2.0, -v64
	v_fma_f16 v14, v14, 2.0, -v65
	;; [unrolled: 1-line block ×8, first 2 shown]
	v_lshlrev_b32_e32 v69, 2, v27
	v_pack_b32_f16 v29, v26, v20
	v_pack_b32_f16 v28, v19, v14
	;; [unrolled: 1-line block ×4, first 2 shown]
	v_perm_b32 v52, v22, v18, 0x5040100
	v_perm_b32 v51, v25, v17, 0x5040100
	;; [unrolled: 1-line block ×3, first 2 shown]
	v_pack_b32_f16 v49, v54, v53
	v_pack_b32_f16 v67, v58, v60
	;; [unrolled: 1-line block ×3, first 2 shown]
	v_perm_b32 v65, v21, v13, 0x5040100
	v_perm_b32 v64, v24, v12, 0x5040100
	v_perm_b32 v58, v63, v62, 0x5040100
	v_perm_b32 v57, v59, v57, 0x5040100
	v_perm_b32 v56, v56, v55, 0x5040100
	v_pack_b32_f16 v55, v68, v61
	ds_store_b128 v69, v[26:29]
	ds_store_b128 v69, v[49:52] offset:16
	ds_store_b128 v69, v[64:67] offset:32
	;; [unrolled: 1-line block ×3, first 2 shown]
.LBB0_17:
	s_wait_alu 0xfffe
	s_or_b32 exec_lo, exec_lo, s1
	global_wb scope:SCOPE_SE
	s_wait_dscnt 0x0
	s_barrier_signal -1
	s_barrier_wait -1
	global_inv scope:SCOPE_SE
	ds_load_2addr_b32 v[19:20], v31 offset1:160
	v_add_nc_u32_e32 v28, 0x400, v31
	ds_load_b32 v14, v31 offset:2560
	ds_load_2addr_b32 v[29:30], v28 offset0:64 offset1:224
	global_wb scope:SCOPE_SE
	s_wait_dscnt 0x0
	s_barrier_signal -1
	s_barrier_wait -1
	global_inv scope:SCOPE_SE
	v_lshrrev_b32_e32 v27, 16, v20
	v_mul_f16_e32 v49, v47, v20
	v_lshrrev_b32_e32 v26, 16, v19
	v_lshrrev_b32_e32 v34, 16, v14
	;; [unrolled: 1-line block ×4, first 2 shown]
	v_mul_f16_e32 v47, v47, v27
	v_mul_f16_e32 v50, v48, v14
	;; [unrolled: 1-line block ×5, first 2 shown]
	v_fmac_f16_e32 v47, v0, v20
	v_mul_f16_e32 v20, v46, v51
	v_fma_f16 v49, v0, v27, -v49
	v_mul_f16_e32 v27, v46, v29
	v_fmac_f16_e32 v48, v3, v14
	v_fmac_f16_e32 v45, v2, v30
	;; [unrolled: 1-line block ×3, first 2 shown]
	v_fma_f16 v34, v3, v34, -v50
	v_fma_f16 v46, v1, v51, -v27
	;; [unrolled: 1-line block ×3, first 2 shown]
	v_add_f16_e32 v2, v47, v48
	v_add_f16_e32 v14, v20, v45
	v_add_f16_e32 v0, v26, v49
	v_add_f16_e32 v1, v19, v47
	v_sub_f16_e32 v30, v46, v50
	v_sub_f16_e32 v3, v49, v34
	v_fma_f16 v14, -0.5, v14, v19
	v_fmac_f16_e32 v19, -0.5, v2
	v_add_f16_e32 v51, v0, v46
	v_add_f16_e32 v0, v46, v50
	v_add_f16_e32 v1, v1, v20
	v_sub_f16_e32 v52, v47, v48
	v_fmamk_f16 v2, v30, 0x3b9c, v19
	v_fmac_f16_e32 v19, 0xbb9c, v30
	v_sub_f16_e32 v27, v47, v20
	v_sub_f16_e32 v47, v20, v47
	;; [unrolled: 1-line block ×3, first 2 shown]
	v_fma_f16 v29, -0.5, v0, v26
	v_add_f16_e32 v0, v1, v45
	v_fmamk_f16 v1, v3, 0xbb9c, v14
	v_fmac_f16_e32 v14, 0x3b9c, v3
	v_fmac_f16_e32 v2, 0xb8b4, v3
	;; [unrolled: 1-line block ×3, first 2 shown]
	v_add_f16_e32 v3, v49, v34
	v_sub_f16_e32 v53, v48, v45
	v_add_f16_e32 v47, v47, v54
	v_sub_f16_e32 v20, v20, v45
	v_fmac_f16_e32 v1, 0xb8b4, v30
	v_fmac_f16_e32 v26, -0.5, v3
	v_add_f16_e32 v53, v27, v53
	v_fmamk_f16 v27, v52, 0x3b9c, v29
	v_fmac_f16_e32 v2, 0x34f2, v47
	v_fmac_f16_e32 v19, 0x34f2, v47
	v_sub_f16_e32 v3, v49, v46
	v_sub_f16_e32 v47, v34, v50
	v_fmac_f16_e32 v14, 0x38b4, v30
	v_add_f16_e32 v0, v0, v48
	v_fmamk_f16 v30, v20, 0xbb9c, v26
	v_sub_f16_e32 v46, v46, v49
	v_sub_f16_e32 v48, v50, v34
	v_fmac_f16_e32 v26, 0x3b9c, v20
	v_fmac_f16_e32 v29, 0xbb9c, v52
	v_add_f16_e32 v45, v51, v50
	v_fmac_f16_e32 v27, 0x38b4, v20
	v_add_f16_e32 v3, v3, v47
	v_fmac_f16_e32 v30, 0x38b4, v52
	v_add_f16_e32 v46, v46, v48
	v_fmac_f16_e32 v26, 0xb8b4, v52
	v_fmac_f16_e32 v29, 0xb8b4, v20
	;; [unrolled: 1-line block ×3, first 2 shown]
	v_add_f16_e32 v20, v45, v34
	v_fmac_f16_e32 v27, 0x34f2, v3
	v_fmac_f16_e32 v30, 0x34f2, v46
	v_fmac_f16_e32 v26, 0x34f2, v46
	v_fmac_f16_e32 v14, 0x34f2, v53
	v_fmac_f16_e32 v29, 0x34f2, v3
	v_pack_b32_f16 v3, v0, v20
	v_pack_b32_f16 v34, v1, v27
	v_pack_b32_f16 v45, v2, v30
	v_pack_b32_f16 v46, v19, v26
	v_pack_b32_f16 v47, v14, v29
	ds_store_2addr_b32 v33, v3, v34 offset1:16
	ds_store_2addr_b32 v33, v45, v46 offset0:32 offset1:48
	ds_store_b32 v33, v47 offset:256
	global_wb scope:SCOPE_SE
	s_wait_dscnt 0x0
	s_barrier_signal -1
	s_barrier_wait -1
	global_inv scope:SCOPE_SE
	s_and_saveexec_b32 s1, s0
	s_cbranch_execz .LBB0_19
; %bb.18:
	ds_load_2addr_b32 v[2:3], v31 offset0:160 offset1:240
	v_add_nc_u32_e32 v12, 0x600, v31
	v_add_nc_u32_e32 v13, 0x800, v31
	ds_load_2addr_b32 v[0:1], v31 offset1:80
	s_wait_dscnt 0x1
	v_mov_b32_e32 v19, v3
	ds_load_2addr_b32 v[14:15], v28 offset0:64 offset1:144
	ds_load_2addr_b32 v[17:18], v12 offset0:96 offset1:176
	;; [unrolled: 1-line block ×3, first 2 shown]
	v_lshrrev_b32_e32 v30, 16, v2
	s_wait_dscnt 0x3
	v_lshrrev_b32_e32 v20, 16, v0
	v_lshrrev_b32_e32 v27, 16, v1
	;; [unrolled: 1-line block ×3, first 2 shown]
	s_wait_dscnt 0x2
	v_lshrrev_b32_e32 v29, 16, v14
	v_lshrrev_b32_e32 v23, 16, v15
	s_wait_dscnt 0x1
	v_lshrrev_b32_e32 v25, 16, v17
	v_lshrrev_b32_e32 v22, 16, v18
	s_wait_dscnt 0x0
	v_lshrrev_b32_e32 v24, 16, v12
	v_lshrrev_b32_e32 v21, 16, v13
.LBB0_19:
	s_wait_alu 0xfffe
	s_or_b32 exec_lo, exec_lo, s1
	s_and_saveexec_b32 s1, s0
	s_cbranch_execz .LBB0_21
; %bb.20:
	v_mul_f16_e32 v3, v42, v14
	v_mul_f16_e32 v28, v41, v17
	;; [unrolled: 1-line block ×5, first 2 shown]
	v_fma_f16 v3, v7, v29, -v3
	v_fma_f16 v28, v9, v25, -v28
	v_mul_f16_e32 v43, v43, v30
	v_fma_f16 v30, v5, v30, -v33
	v_fmac_f16_e32 v44, v11, v12
	v_mul_f16_e32 v12, v42, v29
	v_add_f16_e32 v33, v28, v3
	v_mul_f16_e32 v25, v41, v25
	v_fma_f16 v24, v11, v24, -v34
	v_mul_f16_e32 v34, v40, v23
	v_fmac_f16_e32 v12, v7, v14
	v_fma_f16 v11, -0.5, v33, v20
	v_mul_f16_e32 v33, v36, v26
	v_fmac_f16_e32 v25, v9, v17
	v_mul_f16_e32 v7, v38, v21
	v_mul_f16_e32 v14, v40, v15
	;; [unrolled: 1-line block ×3, first 2 shown]
	v_fmac_f16_e32 v33, v6, v19
	v_fmac_f16_e32 v34, v8, v15
	v_mul_f16_e32 v9, v39, v22
	v_fmac_f16_e32 v7, v35, v13
	v_mul_f16_e32 v15, v39, v18
	v_fma_f16 v8, v8, v23, -v14
	v_mul_f16_e32 v14, v37, v1
	v_fmac_f16_e32 v17, v4, v1
	v_mul_f16_e32 v1, v36, v19
	v_mul_f16_e32 v13, v38, v13
	v_fmac_f16_e32 v9, v10, v18
	v_fma_f16 v10, v10, v22, -v15
	v_fma_f16 v4, v4, v27, -v14
	v_fma_f16 v1, v6, v26, -v1
	v_fma_f16 v6, v35, v21, -v13
	v_add_f16_e32 v41, v7, v33
	v_add_f16_e32 v14, v10, v8
	;; [unrolled: 1-line block ×3, first 2 shown]
	v_sub_f16_e32 v21, v1, v8
	v_sub_f16_e32 v19, v1, v6
	;; [unrolled: 1-line block ×3, first 2 shown]
	v_add_f16_e32 v40, v6, v1
	v_fma_f16 v41, -0.5, v41, v17
	v_sub_f16_e32 v47, v8, v1
	v_add_f16_e32 v1, v1, v4
	v_fmac_f16_e32 v43, v5, v2
	v_fma_f16 v14, -0.5, v14, v4
	v_sub_f16_e32 v18, v33, v7
	v_fma_f16 v15, -0.5, v15, v17
	v_fmamk_f16 v50, v36, 0xbb9c, v41
	v_fmac_f16_e32 v41, 0x3b9c, v36
	v_add_f16_e32 v1, v8, v1
	v_sub_f16_e32 v29, v43, v44
	v_sub_f16_e32 v22, v6, v10
	v_fmamk_f16 v23, v18, 0xbb9c, v14
	v_sub_f16_e32 v26, v34, v9
	v_fmamk_f16 v35, v19, 0x3b9c, v15
	v_add_f16_e32 v38, v24, v30
	v_fmac_f16_e32 v50, 0x38b4, v19
	v_fmac_f16_e32 v41, 0xb8b4, v19
	;; [unrolled: 1-line block ×4, first 2 shown]
	v_add_f16_e32 v19, v30, v20
	v_add_f16_e32 v1, v10, v1
	v_fma_f16 v40, -0.5, v40, v4
	v_sub_f16_e32 v2, v30, v3
	v_sub_f16_e32 v5, v24, v28
	v_add_f16_e32 v21, v22, v21
	v_fmac_f16_e32 v23, 0xb8b4, v26
	v_fmamk_f16 v22, v29, 0xbb9c, v11
	v_sub_f16_e32 v37, v12, v25
	v_fma_f16 v38, -0.5, v38, v20
	v_sub_f16_e32 v48, v10, v6
	v_fmac_f16_e32 v14, 0x38b4, v26
	v_fmac_f16_e32 v11, 0x3b9c, v29
	v_add_f16_e32 v4, v3, v19
	v_add_f16_e32 v1, v6, v1
	;; [unrolled: 1-line block ×4, first 2 shown]
	v_sub_f16_e32 v45, v34, v33
	v_sub_f16_e32 v46, v9, v7
	v_fmamk_f16 v49, v26, 0x3b9c, v40
	v_fmac_f16_e32 v40, 0xbb9c, v26
	v_sub_f16_e32 v13, v33, v34
	v_sub_f16_e32 v27, v7, v9
	v_fmac_f16_e32 v23, 0x34f2, v21
	v_add_f16_e32 v2, v5, v2
	v_fmac_f16_e32 v22, 0xb8b4, v37
	v_fmamk_f16 v51, v37, 0x3b9c, v38
	v_fmac_f16_e32 v38, 0xbb9c, v37
	v_fmac_f16_e32 v14, 0x34f2, v21
	;; [unrolled: 1-line block ×3, first 2 shown]
	v_add_f16_e32 v4, v28, v4
	v_fma_f16 v6, -0.5, v6, v0
	v_sub_f16_e32 v21, v30, v24
	v_fma_f16 v20, -0.5, v20, v0
	v_add_f16_e32 v0, v43, v0
	v_add_f16_e32 v17, v33, v17
	v_sub_f16_e32 v39, v3, v30
	v_add_f16_e32 v45, v46, v45
	v_add_f16_e32 v46, v48, v47
	v_fmac_f16_e32 v49, 0xb8b4, v18
	v_fmac_f16_e32 v40, 0x38b4, v18
	v_sub_f16_e32 v3, v3, v28
	v_add_f16_e32 v13, v27, v13
	v_fmac_f16_e32 v22, 0x34f2, v2
	v_sub_f16_e32 v42, v28, v24
	v_fmac_f16_e32 v51, 0xb8b4, v29
	v_fmac_f16_e32 v38, 0x38b4, v29
	;; [unrolled: 1-line block ×4, first 2 shown]
	v_add_f16_e32 v2, v24, v4
	v_sub_f16_e32 v24, v43, v12
	v_sub_f16_e32 v26, v44, v25
	v_fmamk_f16 v28, v21, 0x3b9c, v6
	v_sub_f16_e32 v29, v12, v43
	v_fmac_f16_e32 v6, 0xbb9c, v21
	v_add_f16_e32 v0, v12, v0
	v_add_f16_e32 v12, v34, v17
	v_fmac_f16_e32 v35, 0x38b4, v36
	v_fmac_f16_e32 v49, 0x34f2, v46
	;; [unrolled: 1-line block ×3, first 2 shown]
	v_sub_f16_e32 v30, v25, v44
	v_fmamk_f16 v36, v3, 0xbb9c, v20
	v_fmac_f16_e32 v20, 0x3b9c, v3
	v_fmac_f16_e32 v15, 0x34f2, v13
	v_mul_f16_e32 v8, 0x3a79, v14
	v_add_f16_e32 v24, v26, v24
	v_fmac_f16_e32 v28, 0x38b4, v3
	v_fmac_f16_e32 v6, 0xb8b4, v3
	v_mul_f16_e32 v3, 0xb8b4, v14
	v_add_f16_e32 v0, v25, v0
	v_add_f16_e32 v9, v9, v12
	v_fmac_f16_e32 v35, 0x34f2, v13
	v_mul_f16_e32 v5, 0xba79, v23
	v_add_f16_e32 v39, v42, v39
	v_fmac_f16_e32 v50, 0x34f2, v45
	v_mul_f16_e32 v42, 0xb4f2, v49
	v_fmac_f16_e32 v41, 0x34f2, v45
	v_mul_f16_e32 v18, 0x34f2, v40
	v_add_f16_e32 v26, v30, v29
	v_fmac_f16_e32 v36, 0x38b4, v21
	v_mul_f16_e32 v29, 0xbb9c, v49
	v_fmac_f16_e32 v20, 0xb8b4, v21
	v_mul_f16_e32 v17, 0xbb9c, v40
	v_mul_f16_e32 v23, 0xb8b4, v23
	v_fmac_f16_e32 v8, 0x38b4, v15
	v_fmac_f16_e32 v6, 0x34f2, v24
	;; [unrolled: 1-line block ×3, first 2 shown]
	v_add_f16_e32 v0, v44, v0
	v_add_f16_e32 v7, v7, v9
	v_fmac_f16_e32 v5, 0x38b4, v35
	v_fmac_f16_e32 v51, 0x34f2, v39
	;; [unrolled: 1-line block ×11, first 2 shown]
	v_sub_f16_e32 v13, v11, v8
	v_sub_f16_e32 v19, v2, v1
	;; [unrolled: 1-line block ×3, first 2 shown]
	v_add_f16_e32 v8, v11, v8
	v_add_f16_e32 v1, v2, v1
	;; [unrolled: 1-line block ×4, first 2 shown]
	v_sub_f16_e32 v27, v22, v5
	v_sub_f16_e32 v10, v38, v18
	;; [unrolled: 1-line block ×3, first 2 shown]
	v_add_f16_e32 v5, v22, v5
	v_add_f16_e32 v22, v51, v42
	v_add_f16_e32 v18, v38, v18
	v_add_f16_e32 v3, v20, v17
	v_add_f16_e32 v6, v36, v29
	v_add_f16_e32 v7, v28, v23
	v_sub_f16_e32 v14, v20, v17
	v_sub_f16_e32 v4, v51, v42
	;; [unrolled: 1-line block ×4, first 2 shown]
	v_pack_b32_f16 v0, v0, v1
	v_pack_b32_f16 v1, v2, v8
	;; [unrolled: 1-line block ×6, first 2 shown]
	v_add_nc_u32_e32 v7, 0x400, v31
	v_pack_b32_f16 v8, v15, v13
	v_pack_b32_f16 v10, v14, v10
	v_add_nc_u32_e32 v11, 0x600, v31
	v_pack_b32_f16 v4, v12, v4
	v_pack_b32_f16 v9, v9, v27
	v_add_nc_u32_e32 v12, 0x800, v31
	ds_store_2addr_b32 v31, v0, v1 offset1:80
	ds_store_2addr_b32 v31, v2, v3 offset0:160 offset1:240
	ds_store_2addr_b32 v7, v5, v6 offset0:64 offset1:144
	;; [unrolled: 1-line block ×4, first 2 shown]
.LBB0_21:
	s_wait_alu 0xfffe
	s_or_b32 exec_lo, exec_lo, s1
	global_wb scope:SCOPE_SE
	s_wait_dscnt 0x0
	s_barrier_signal -1
	s_barrier_wait -1
	global_inv scope:SCOPE_SE
	s_and_b32 exec_lo, exec_lo, vcc_lo
	s_cbranch_execz .LBB0_23
; %bb.22:
	s_clause 0x6
	global_load_b32 v10, v31, s[20:21]
	global_load_b32 v12, v31, s[20:21] offset:200
	global_load_b32 v18, v31, s[20:21] offset:400
	;; [unrolled: 1-line block ×6, first 2 shown]
	ds_load_2addr_b32 v[6:7], v31 offset0:150 offset1:200
	ds_load_b32 v24, v31
	v_mad_co_u64_u32 v[4:5], null, s6, v16, 0
	ds_load_2addr_b32 v[8:9], v31 offset0:50 offset1:100
	v_mad_co_u64_u32 v[2:3], null, s4, v32, 0
	s_mov_b32 s24, 0x47ae147b
	s_mov_b32 s25, 0x3f547ae1
	s_mul_u64 s[22:23], s[4:5], 0xc8
	s_wait_dscnt 0x2
	v_mad_co_u64_u32 v[25:26], null, s7, v16, v[5:6]
	v_add_nc_u32_e32 v0, 0x200, v31
	s_wait_dscnt 0x1
	v_lshrrev_b32_e32 v16, 16, v24
	v_mad_co_u64_u32 v[26:27], null, s5, v32, v[3:4]
	s_wait_dscnt 0x0
	v_lshrrev_b32_e32 v27, 16, v8
	v_lshrrev_b32_e32 v28, 16, v9
	v_mov_b32_e32 v5, v25
	v_lshrrev_b32_e32 v30, 16, v6
	ds_load_2addr_b32 v[0:1], v0 offset0:122 offset1:172
	v_lshrrev_b32_e32 v34, 16, v7
	v_mov_b32_e32 v3, v26
	v_lshlrev_b64_e32 v[4:5], 2, v[4:5]
	s_clause 0x4
	global_load_b32 v17, v31, s[20:21] offset:1400
	global_load_b32 v14, v31, s[20:21] offset:1600
	global_load_b32 v13, v31, s[20:21] offset:1800
	global_load_b32 v15, v31, s[20:21] offset:2000
	global_load_b32 v19, v31, s[20:21] offset:2200
	ds_load_b32 v11, v31 offset:3000
	s_wait_dscnt 0x1
	v_lshrrev_b32_e32 v35, 16, v0
	v_lshrrev_b32_e32 v46, 16, v1
	s_wait_loadcnt 0xb
	v_lshrrev_b32_e32 v25, 16, v10
	s_wait_loadcnt 0xa
	;; [unrolled: 2-line block ×5, first 2 shown]
	v_lshrrev_b32_e32 v33, 16, v21
	v_mul_f16_e32 v37, v16, v25
	v_mul_f16_e32 v25, v24, v25
	;; [unrolled: 1-line block ×5, first 2 shown]
	v_fmac_f16_e32 v37, v24, v10
	v_fma_f16 v10, v10, v16, -v25
	v_fmac_f16_e32 v38, v8, v12
	v_mul_f16_e32 v16, v30, v32
	v_mul_f16_e32 v40, v6, v32
	v_cvt_f32_f16_e32 v24, v37
	v_cvt_f32_f16_e32 v8, v10
	v_fma_f16 v12, v12, v27, -v26
	v_cvt_f32_f16_e32 v32, v38
	v_mul_f16_e32 v29, v9, v29
	v_cvt_f64_f32_e32 v[24:25], v24
	v_cvt_f64_f32_e32 v[26:27], v8
	v_fmac_f16_e32 v39, v9, v18
	v_cvt_f32_f16_e32 v12, v12
	v_cvt_f64_f32_e32 v[8:9], v32
	v_fma_f16 v18, v18, v28, -v29
	v_mul_f16_e32 v10, v34, v33
	v_cvt_f32_f16_e32 v32, v39
	v_cvt_f64_f32_e32 v[28:29], v12
	v_mul_f16_e32 v37, v7, v33
	v_fmac_f16_e32 v16, v6, v20
	v_cvt_f32_f16_e32 v6, v18
	v_cvt_f64_f32_e32 v[32:33], v32
	s_wait_loadcnt 0x6
	v_lshrrev_b32_e32 v36, 16, v22
	v_fma_f16 v18, v20, v30, -v40
	v_cvt_f32_f16_e32 v16, v16
	v_fmac_f16_e32 v10, v7, v21
	v_cvt_f64_f32_e32 v[6:7], v6
	v_mul_f16_e32 v38, v35, v36
	v_mul_f16_e32 v36, v0, v36
	v_fma_f16 v30, v21, v34, -v37
	v_cvt_f64_f32_e32 v[20:21], v16
	v_cvt_f32_f16_e32 v16, v18
	v_fmac_f16_e32 v38, v0, v22
	v_fma_f16 v0, v22, v35, -v36
	v_cvt_f32_f16_e32 v10, v10
	s_wait_loadcnt 0x5
	v_lshrrev_b32_e32 v47, 16, v23
	v_cvt_f64_f32_e32 v[34:35], v16
	v_cvt_f32_f16_e32 v16, v30
	v_cvt_f32_f16_e32 v0, v0
	v_cvt_f64_f32_e32 v[36:37], v10
	v_cvt_f32_f16_e32 v18, v38
	v_mul_f16_e32 v12, v46, v47
	v_cvt_f64_f32_e32 v[38:39], v16
	v_cvt_f64_f32_e32 v[42:43], v0
	v_add_co_u32 v0, vcc_lo, s8, v4
	v_add_co_ci_u32_e32 v10, vcc_lo, s9, v5, vcc_lo
	v_mul_f64_e32 v[24:25], s[24:25], v[24:25]
	v_mul_f64_e32 v[26:27], s[24:25], v[26:27]
	v_fmac_f16_e32 v12, v1, v23
	v_mul_f64_e32 v[4:5], s[24:25], v[8:9]
	v_cvt_f64_f32_e32 v[40:41], v18
	v_mul_f64_e32 v[8:9], s[24:25], v[28:29]
	s_delay_alu instid0(VALU_DEP_4) | instskip(NEXT) | instid1(VALU_DEP_1)
	v_cvt_f32_f16_e32 v12, v12
	v_cvt_f64_f32_e32 v[44:45], v12
	v_mul_f64_e32 v[6:7], s[24:25], v[6:7]
	v_mul_f64_e32 v[20:21], s[24:25], v[20:21]
	;; [unrolled: 1-line block ×5, first 2 shown]
	v_bfe_u32 v16, v25, 20, 11
	v_lshrrev_b32_e32 v12, 8, v25
	v_lshrrev_b32_e32 v18, 16, v25
	v_and_or_b32 v4, 0x1ff, v5, v4
	v_mul_f64_e32 v[40:41], s[24:25], v[40:41]
	v_sub_nc_u32_e32 v65, 0x3f1, v16
	v_add_nc_u32_e32 v16, 0xfffffc10, v16
	v_lshlrev_b64_e32 v[2:3], 2, v[2:3]
	v_and_or_b32 v8, 0x1ff, v9, v8
	v_lshrrev_b32_e32 v30, 8, v5
	v_bfe_u32 v48, v5, 20, 11
	v_lshrrev_b32_e32 v49, 8, v9
	v_bfe_u32 v50, v9, 20, 11
	v_add_co_u32 v2, vcc_lo, v0, v2
	s_wait_alu 0xfffd
	v_add_co_ci_u32_e32 v3, vcc_lo, v10, v3, vcc_lo
	v_mul_f16_e32 v10, v1, v47
	v_mul_f64_e32 v[0:1], s[24:25], v[32:33]
	v_add_co_u32 v28, vcc_lo, v2, s22
	s_wait_alu 0xfffd
	v_add_co_ci_u32_e32 v29, vcc_lo, s23, v3, vcc_lo
	v_fma_f16 v10, v23, v46, -v10
	s_delay_alu instid0(VALU_DEP_3)
	v_add_co_u32 v22, vcc_lo, v28, s22
	v_mul_f64_e32 v[32:33], s[24:25], v[34:35]
	s_wait_alu 0xfffd
	v_add_co_ci_u32_e32 v23, vcc_lo, s23, v29, vcc_lo
	v_cvt_f32_f16_e32 v10, v10
	v_add_co_u32 v34, vcc_lo, v22, s22
	s_wait_alu 0xfffd
	s_delay_alu instid0(VALU_DEP_3) | instskip(NEXT) | instid1(VALU_DEP_3)
	v_add_co_ci_u32_e32 v35, vcc_lo, s23, v23, vcc_lo
	v_cvt_f64_f32_e32 v[46:47], v10
	v_and_or_b32 v10, 0x1ff, v25, v24
	v_and_or_b32 v24, 0x1ff, v27, v26
	;; [unrolled: 1-line block ×5, first 2 shown]
	v_cmp_ne_u32_e32 vcc_lo, 0, v10
	v_and_or_b32 v38, 0x1ff, v39, v38
	v_lshrrev_b32_e32 v61, 8, v39
	v_bfe_u32 v62, v39, 20, 11
	v_lshrrev_b32_e32 v59, 8, v37
	s_wait_alu 0xfffd
	v_cndmask_b32_e64 v10, 0, 1, vcc_lo
	v_cmp_ne_u32_e32 vcc_lo, 0, v24
	v_bfe_u32 v60, v37, 20, 11
	v_sub_nc_u32_e32 v74, 0x3f1, v62
	v_add_nc_u32_e32 v62, 0xfffffc10, v62
	v_lshrrev_b32_e32 v55, 8, v21
	s_wait_alu 0xfffd
	v_cndmask_b32_e64 v24, 0, 1, vcc_lo
	v_cmp_ne_u32_e32 vcc_lo, 0, v4
	v_sub_nc_u32_e32 v73, 0x3f1, v60
	v_bfe_u32 v56, v21, 20, 11
	v_lshrrev_b32_e32 v53, 8, v7
	v_and_or_b32 v0, 0x1ff, v1, v0
	s_wait_alu 0xfffd
	v_cndmask_b32_e64 v4, 0, 1, vcc_lo
	v_cmp_ne_u32_e32 vcc_lo, 0, v8
	v_bfe_u32 v54, v7, 20, 11
	v_and_or_b32 v40, 0x1ff, v41, v40
	v_sub_nc_u32_e32 v71, 0x3f1, v56
	v_lshrrev_b32_e32 v25, 8, v27
	s_wait_alu 0xfffd
	v_cndmask_b32_e64 v8, 0, 1, vcc_lo
	v_cmp_ne_u32_e32 vcc_lo, 0, v0
	v_and_or_b32 v32, 0x1ff, v33, v32
	v_lshrrev_b32_e32 v57, 8, v33
	v_bfe_u32 v58, v33, 20, 11
	v_bfe_u32 v26, v27, 20, 11
	s_wait_alu 0xfffd
	v_cndmask_b32_e64 v0, 0, 1, vcc_lo
	v_cmp_ne_u32_e32 vcc_lo, 0, v6
	v_lshrrev_b32_e32 v51, 8, v1
	v_sub_nc_u32_e32 v72, 0x3f1, v58
	v_bfe_u32 v52, v1, 20, 11
	v_sub_nc_u32_e32 v70, 0x3f1, v54
	s_wait_alu 0xfffd
	v_cndmask_b32_e64 v6, 0, 1, vcc_lo
	v_cmp_ne_u32_e32 vcc_lo, 0, v20
	v_and_or_b32 v10, 0xffe, v12, v10
	v_sub_nc_u32_e32 v66, 0x3f1, v26
	v_sub_nc_u32_e32 v69, 0x3f1, v52
	v_and_or_b32 v6, 0xffe, v53, v6
	s_wait_alu 0xfffd
	v_cndmask_b32_e64 v20, 0, 1, vcc_lo
	v_cmp_ne_u32_e32 vcc_lo, 0, v32
	v_and_or_b32 v24, 0xffe, v25, v24
	v_and_or_b32 v0, 0xffe, v51, v0
	v_add_nc_u32_e32 v26, 0xfffffc10, v26
	v_and_or_b32 v20, 0xffe, v55, v20
	s_wait_alu 0xfffd
	v_cndmask_b32_e64 v32, 0, 1, vcc_lo
	v_cmp_ne_u32_e32 vcc_lo, 0, v36
	v_sub_nc_u32_e32 v67, 0x3f1, v48
	v_sub_nc_u32_e32 v68, 0x3f1, v50
	v_med3_i32 v12, v65, 0, 13
	v_and_or_b32 v32, 0xffe, v57, v32
	s_wait_alu 0xfffd
	v_cndmask_b32_e64 v36, 0, 1, vcc_lo
	v_cmp_ne_u32_e32 vcc_lo, 0, v38
	v_med3_i32 v25, v66, 0, 13
	v_and_or_b32 v4, 0xffe, v30, v4
	v_and_or_b32 v8, 0xffe, v49, v8
	;; [unrolled: 1-line block ×3, first 2 shown]
	s_wait_alu 0xfffd
	v_cndmask_b32_e64 v38, 0, 1, vcc_lo
	v_cmp_ne_u32_e32 vcc_lo, 0, v40
	v_or_b32_e32 v65, 0x1000, v10
	v_lshl_or_b32 v66, v16, 12, v10
	v_med3_i32 v30, v67, 0, 13
	v_and_or_b32 v38, 0xffe, v61, v38
	s_wait_alu 0xfffd
	v_cndmask_b32_e64 v40, 0, 1, vcc_lo
	v_cmp_ne_u32_e32 vcc_lo, 0, v10
	v_med3_i32 v61, v74, 0, 13
	v_med3_i32 v49, v68, 0, 13
	v_lshl_or_b32 v84, v62, 12, v38
	v_add_nc_u32_e32 v60, 0xfffffc10, v60
	s_wait_alu 0xfffd
	v_cndmask_b32_e64 v10, 0, 1, vcc_lo
	v_cmp_ne_u32_e32 vcc_lo, 0, v24
	v_med3_i32 v57, v72, 0, 13
	v_or_b32_e32 v67, 0x1000, v24
	v_lshl_or_b32 v82, v60, 12, v36
	v_add_nc_u32_e32 v58, 0xfffffc10, v58
	v_lshl_or_b32 v68, v26, 12, v24
	s_wait_alu 0xfffd
	v_cndmask_b32_e64 v24, 0, 1, vcc_lo
	v_cmp_ne_u32_e32 vcc_lo, 0, v4
	v_med3_i32 v51, v69, 0, 13
	v_lshl_or_b32 v80, v58, 12, v32
	v_add_nc_u32_e32 v56, 0xfffffc10, v56
	v_med3_i32 v53, v70, 0, 13
	v_or_b32_e32 v69, 0x1000, v4
	v_bfe_u32 v64, v41, 20, 11
	v_med3_i32 v55, v71, 0, 13
	v_lshl_or_b32 v78, v56, 12, v20
	v_add_nc_u32_e32 v54, 0xfffffc10, v54
	v_or_b32_e32 v71, 0x1000, v8
	v_lshrrev_b32_e32 v63, 8, v41
	v_sub_nc_u32_e32 v75, 0x3f1, v64
	v_med3_i32 v59, v73, 0, 13
	v_lshl_or_b32 v76, v54, 12, v6
	v_add_nc_u32_e32 v52, 0xfffffc10, v52
	v_or_b32_e32 v73, 0x1000, v0
	v_and_or_b32 v40, 0xffe, v63, v40
	v_med3_i32 v63, v75, 0, 13
	v_or_b32_e32 v75, 0x1000, v6
	v_lshl_or_b32 v74, v52, 12, v0
	v_add_nc_u32_e32 v50, 0xfffffc10, v50
	v_or_b32_e32 v77, 0x1000, v20
	v_or_b32_e32 v79, 0x1000, v32
	v_lshrrev_b32_e32 v86, v12, v65
	v_or_b32_e32 v81, 0x1000, v36
	v_lshl_or_b32 v72, v50, 12, v8
	v_add_nc_u32_e32 v48, 0xfffffc10, v48
	v_or_b32_e32 v83, 0x1000, v38
	v_lshlrev_b32_e32 v12, v12, v86
	v_lshrrev_b32_e32 v87, v25, v67
	v_lshrrev_b32_e32 v88, v30, v69
	v_lshl_or_b32 v70, v48, 12, v4
	s_wait_alu 0xfffd
	v_cndmask_b32_e64 v4, 0, 1, vcc_lo
	v_cmp_ne_u32_e32 vcc_lo, 0, v8
	v_lshrrev_b32_e32 v89, v49, v71
	v_lshlrev_b32_e32 v30, v30, v88
	v_lshrrev_b32_e32 v90, v51, v73
	v_lshrrev_b32_e32 v91, v53, v75
	s_wait_alu 0xfffd
	v_cndmask_b32_e64 v8, 0, 1, vcc_lo
	v_cmp_ne_u32_e32 vcc_lo, 0, v0
	v_lshrrev_b32_e32 v92, v55, v77
	v_lshlrev_b32_e32 v51, v51, v90
	v_lshlrev_b32_e32 v53, v53, v91
	v_lshl_or_b32 v10, v10, 9, 0x7c00
	s_wait_alu 0xfffd
	v_cndmask_b32_e64 v0, 0, 1, vcc_lo
	v_cmp_ne_u32_e32 vcc_lo, 0, v6
	v_lshrrev_b32_e32 v93, v57, v79
	v_lshlrev_b32_e32 v55, v55, v92
	v_lshl_or_b32 v4, v4, 9, 0x7c00
	v_lshrrev_b32_e32 v94, v59, v81
	s_wait_alu 0xfffd
	v_cndmask_b32_e64 v6, 0, 1, vcc_lo
	v_cmp_ne_u32_e32 vcc_lo, 0, v20
	v_lshlrev_b32_e32 v57, v57, v93
	v_or_b32_e32 v85, 0x1000, v40
	v_lshl_or_b32 v24, v24, 9, 0x7c00
	v_lshrrev_b32_e32 v95, v61, v83
	s_wait_alu 0xfffd
	v_cndmask_b32_e64 v20, 0, 1, vcc_lo
	v_cmp_ne_u32_e32 vcc_lo, 0, v32
	v_lshlrev_b32_e32 v59, v59, v94
	v_lshl_or_b32 v0, v0, 9, 0x7c00
	v_lshrrev_b32_e32 v96, v63, v85
	v_lshlrev_b32_e32 v61, v61, v95
	s_wait_alu 0xfffd
	v_cndmask_b32_e64 v32, 0, 1, vcc_lo
	v_cmp_ne_u32_e32 vcc_lo, 0, v36
	v_lshl_or_b32 v6, v6, 9, 0x7c00
	v_lshlrev_b32_e32 v63, v63, v96
	v_lshl_or_b32 v8, v8, 9, 0x7c00
	v_lshl_or_b32 v20, v20, 9, 0x7c00
	s_wait_alu 0xfffd
	v_cndmask_b32_e64 v36, 0, 1, vcc_lo
	v_cmp_ne_u32_e32 vcc_lo, 0, v38
	v_lshl_or_b32 v32, v32, 9, 0x7c00
	v_lshrrev_b32_e32 v5, 16, v5
	v_lshrrev_b32_e32 v1, 16, v1
	v_lshl_or_b32 v36, v36, 9, 0x7c00
	s_wait_alu 0xfffd
	v_cndmask_b32_e64 v38, 0, 1, vcc_lo
	v_cmp_ne_u32_e32 vcc_lo, v12, v65
	v_lshrrev_b32_e32 v27, 16, v27
	v_lshrrev_b32_e32 v7, 16, v7
	;; [unrolled: 1-line block ×4, first 2 shown]
	s_wait_alu 0xfffd
	v_cndmask_b32_e64 v12, 0, 1, vcc_lo
	v_mul_f64_e32 v[44:45], s[24:25], v[44:45]
	v_lshrrev_b32_e32 v33, 16, v33
	v_lshl_or_b32 v38, v38, 9, 0x7c00
	v_lshrrev_b32_e32 v37, 16, v37
	v_or_b32_e32 v12, v86, v12
	v_lshlrev_b32_e32 v25, v25, v87
	v_lshrrev_b32_e32 v39, 16, v39
	s_delay_alu instid0(VALU_DEP_2) | instskip(SKIP_3) | instid1(VALU_DEP_2)
	v_cmp_ne_u32_e32 vcc_lo, v25, v67
	s_wait_alu 0xfffd
	v_cndmask_b32_e64 v25, 0, 1, vcc_lo
	v_cmp_ne_u32_e32 vcc_lo, v30, v69
	v_or_b32_e32 v25, v87, v25
	s_wait_alu 0xfffd
	v_cndmask_b32_e64 v30, 0, 1, vcc_lo
	s_delay_alu instid0(VALU_DEP_1) | instskip(SKIP_1) | instid1(VALU_DEP_1)
	v_or_b32_e32 v30, v88, v30
	v_lshlrev_b32_e32 v49, v49, v89
	v_cmp_ne_u32_e32 vcc_lo, v49, v71
	s_wait_alu 0xfffd
	v_cndmask_b32_e64 v49, 0, 1, vcc_lo
	v_cmp_ne_u32_e32 vcc_lo, v51, v73
	s_delay_alu instid0(VALU_DEP_2) | instskip(SKIP_3) | instid1(VALU_DEP_2)
	v_or_b32_e32 v49, v89, v49
	s_wait_alu 0xfffd
	v_cndmask_b32_e64 v51, 0, 1, vcc_lo
	v_cmp_ne_u32_e32 vcc_lo, v53, v75
	v_or_b32_e32 v51, v90, v51
	s_wait_alu 0xfffd
	v_cndmask_b32_e64 v53, 0, 1, vcc_lo
	v_cmp_ne_u32_e32 vcc_lo, v55, v77
	s_delay_alu instid0(VALU_DEP_2) | instskip(SKIP_3) | instid1(VALU_DEP_2)
	v_or_b32_e32 v53, v91, v53
	s_wait_alu 0xfffd
	v_cndmask_b32_e64 v55, 0, 1, vcc_lo
	v_cmp_ne_u32_e32 vcc_lo, v57, v79
	v_or_b32_e32 v55, v92, v55
	;; [unrolled: 9-line block ×3, first 2 shown]
	s_wait_alu 0xfffd
	v_cndmask_b32_e64 v61, 0, 1, vcc_lo
	v_cmp_ne_u32_e32 vcc_lo, v63, v85
	s_delay_alu instid0(VALU_DEP_2)
	v_or_b32_e32 v61, v95, v61
	s_wait_alu 0xfffd
	v_cndmask_b32_e64 v63, 0, 1, vcc_lo
	v_cmp_gt_i32_e32 vcc_lo, 1, v16
	s_wait_alu 0xfffd
	v_cndmask_b32_e32 v12, v66, v12, vcc_lo
	v_cmp_gt_i32_e32 vcc_lo, 1, v26
	s_delay_alu instid0(VALU_DEP_2)
	v_and_b32_e32 v65, 7, v12
	s_wait_alu 0xfffd
	v_cndmask_b32_e32 v25, v68, v25, vcc_lo
	v_cmp_gt_i32_e32 vcc_lo, 1, v48
	v_lshrrev_b32_e32 v12, 2, v12
	v_cmp_eq_u32_e64 s0, 3, v65
	s_delay_alu instid0(VALU_DEP_4)
	v_and_b32_e32 v66, 7, v25
	s_wait_alu 0xfffd
	v_cndmask_b32_e32 v30, v70, v30, vcc_lo
	v_cmp_gt_i32_e32 vcc_lo, 1, v50
	v_lshrrev_b32_e32 v25, 2, v25
	v_cmp_lt_i32_e64 s1, 5, v66
	s_delay_alu instid0(VALU_DEP_4)
	v_and_b32_e32 v67, 7, v30
	s_wait_alu 0xfffd
	v_cndmask_b32_e32 v49, v72, v49, vcc_lo
	v_cmp_gt_i32_e32 vcc_lo, 1, v52
	v_cmp_eq_u32_e64 s2, 3, v66
	v_lshrrev_b32_e32 v30, 2, v30
	v_cmp_lt_i32_e64 s3, 5, v67
	s_wait_alu 0xfffd
	v_dual_cndmask_b32 v51, v74, v51 :: v_dual_and_b32 v68, 7, v49
	v_cmp_gt_i32_e32 vcc_lo, 1, v54
	v_cmp_eq_u32_e64 s4, 3, v67
	v_lshrrev_b32_e32 v49, 2, v49
	s_delay_alu instid0(VALU_DEP_4)
	v_cmp_lt_i32_e64 s5, 5, v68
	v_and_b32_e32 v69, 7, v51
	s_wait_alu 0xfffd
	v_cndmask_b32_e32 v53, v76, v53, vcc_lo
	v_cmp_gt_i32_e32 vcc_lo, 1, v56
	v_cmp_eq_u32_e64 s6, 3, v68
	v_lshrrev_b32_e32 v51, 2, v51
	v_cmp_lt_i32_e64 s7, 5, v69
	s_wait_alu 0xfffd
	v_dual_cndmask_b32 v55, v78, v55 :: v_dual_and_b32 v70, 7, v53
	v_cmp_gt_i32_e32 vcc_lo, 1, v58
	v_cmp_eq_u32_e64 s8, 3, v69
	v_lshrrev_b32_e32 v53, 2, v53
	s_delay_alu instid0(VALU_DEP_4)
	v_cmp_lt_i32_e64 s9, 5, v70
	;; [unrolled: 14-line block ×3, first 2 shown]
	v_and_b32_e32 v73, 7, v59
	s_wait_alu 0xfffd
	v_cndmask_b32_e32 v61, v84, v61, vcc_lo
	v_cmp_lt_i32_e32 vcc_lo, 5, v65
	v_cmp_eq_u32_e64 s14, 3, v72
	v_lshrrev_b32_e32 v59, 2, v59
	v_cmp_lt_i32_e64 s15, 5, v73
	v_and_b32_e32 v74, 7, v61
	s_or_b32 vcc_lo, s0, vcc_lo
	v_cmp_eq_u32_e64 s16, 3, v73
	s_wait_alu 0xfffe
	v_add_co_ci_u32_e32 v12, vcc_lo, 0, v12, vcc_lo
	s_or_b32 vcc_lo, s2, s1
	v_cmp_lt_i32_e64 s17, 5, v74
	s_wait_alu 0xfffe
	v_add_co_ci_u32_e32 v25, vcc_lo, 0, v25, vcc_lo
	s_or_b32 vcc_lo, s4, s3
	v_cmp_eq_u32_e64 s18, 3, v74
	s_wait_alu 0xfffe
	v_add_co_ci_u32_e32 v30, vcc_lo, 0, v30, vcc_lo
	s_or_b32 vcc_lo, s6, s5
	v_lshrrev_b32_e32 v61, 2, v61
	s_wait_alu 0xfffe
	v_add_co_ci_u32_e32 v49, vcc_lo, 0, v49, vcc_lo
	s_or_b32 vcc_lo, s8, s7
	s_wait_alu 0xfffe
	v_add_co_ci_u32_e32 v51, vcc_lo, 0, v51, vcc_lo
	s_or_b32 vcc_lo, s10, s9
	s_wait_alu 0xfffe
	v_add_co_ci_u32_e32 v53, vcc_lo, 0, v53, vcc_lo
	s_or_b32 vcc_lo, s12, s11
	s_wait_alu 0xfffe
	v_add_co_ci_u32_e32 v55, vcc_lo, 0, v55, vcc_lo
	s_or_b32 vcc_lo, s14, s13
	s_wait_alu 0xfffe
	v_add_co_ci_u32_e32 v57, vcc_lo, 0, v57, vcc_lo
	s_or_b32 vcc_lo, s16, s15
	s_wait_alu 0xfffe
	v_add_co_ci_u32_e32 v59, vcc_lo, 0, v59, vcc_lo
	s_or_b32 vcc_lo, s18, s17
	s_wait_alu 0xfffe
	v_add_co_ci_u32_e32 v61, vcc_lo, 0, v61, vcc_lo
	v_cmp_gt_i32_e32 vcc_lo, 31, v16
	s_wait_alu 0xfffd
	v_cndmask_b32_e32 v12, 0x7c00, v12, vcc_lo
	v_cmp_gt_i32_e32 vcc_lo, 31, v26
	s_wait_alu 0xfffd
	v_cndmask_b32_e32 v25, 0x7c00, v25, vcc_lo
	;; [unrolled: 3-line block ×10, first 2 shown]
	v_cmp_eq_u32_e32 vcc_lo, 0x40f, v16
	s_wait_alu 0xfffd
	v_cndmask_b32_e32 v10, v12, v10, vcc_lo
	v_cmp_eq_u32_e32 vcc_lo, 0x40f, v26
	s_delay_alu instid0(VALU_DEP_2) | instskip(SKIP_3) | instid1(VALU_DEP_2)
	v_and_or_b32 v10, 0x8000, v18, v10
	s_wait_alu 0xfffd
	v_cndmask_b32_e32 v12, v25, v24, vcc_lo
	v_cmp_eq_u32_e32 vcc_lo, 0x40f, v48
	v_and_or_b32 v12, 0x8000, v27, v12
	s_wait_alu 0xfffd
	v_cndmask_b32_e32 v4, v30, v4, vcc_lo
	v_cmp_eq_u32_e32 vcc_lo, 0x40f, v50
	s_delay_alu instid0(VALU_DEP_2) | instskip(SKIP_3) | instid1(VALU_DEP_3)
	v_and_or_b32 v4, 0x8000, v5, v4
	s_wait_alu 0xfffd
	v_cndmask_b32_e32 v8, v49, v8, vcc_lo
	v_cmp_eq_u32_e32 vcc_lo, 0x40f, v52
	v_and_b32_e32 v4, 0xffff, v4
	s_delay_alu instid0(VALU_DEP_3)
	v_and_or_b32 v5, 0x8000, v9, v8
	s_wait_alu 0xfffd
	v_cndmask_b32_e32 v0, v51, v0, vcc_lo
	v_cmp_eq_u32_e32 vcc_lo, 0x40f, v54
	v_bfe_u32 v9, v43, 20, 11
	v_lshl_or_b32 v4, v5, 16, v4
	s_delay_alu instid0(VALU_DEP_4) | instskip(SKIP_3) | instid1(VALU_DEP_3)
	v_and_or_b32 v0, 0x8000, v1, v0
	s_wait_alu 0xfffd
	v_cndmask_b32_e32 v6, v53, v6, vcc_lo
	v_cmp_eq_u32_e32 vcc_lo, 0x40f, v56
	v_and_b32_e32 v0, 0xffff, v0
	s_delay_alu instid0(VALU_DEP_3)
	v_and_or_b32 v1, 0x8000, v7, v6
	s_wait_alu 0xfffd
	v_cndmask_b32_e32 v16, v55, v20, vcc_lo
	v_cmp_eq_u32_e32 vcc_lo, 0x40f, v58
	v_and_b32_e32 v7, 0xffff, v10
	v_add_nc_u32_e32 v10, 0x400, v31
	v_lshl_or_b32 v0, v1, 16, v0
	v_and_or_b32 v6, 0x8000, v21, v16
	s_wait_alu 0xfffd
	v_cndmask_b32_e32 v20, v57, v32, vcc_lo
	v_cmp_eq_u32_e32 vcc_lo, 0x40f, v60
	v_lshl_or_b32 v7, v12, 16, v7
	s_clause 0x2
	global_store_b32 v[2:3], v7, off
	global_store_b32 v[28:29], v4, off
	;; [unrolled: 1-line block ×3, first 2 shown]
	s_wait_alu 0xfffd
	v_cndmask_b32_e32 v24, v59, v36, vcc_lo
	v_cmp_eq_u32_e32 vcc_lo, 0x40f, v62
	v_and_or_b32 v0, 0x1ff, v43, v42
	v_add_nc_u32_e32 v64, 0xfffffc10, v64
	v_and_or_b32 v8, 0x8000, v33, v20
	v_and_b32_e32 v6, 0xffff, v6
	s_wait_alu 0xfffd
	v_cndmask_b32_e32 v25, v61, v38, vcc_lo
	v_cmp_ne_u32_e32 vcc_lo, 0, v0
	v_and_or_b32 v5, 0x8000, v37, v24
	v_or_b32_e32 v3, v96, v63
	v_lshl_or_b32 v6, v8, 16, v6
	v_lshl_or_b32 v4, v64, 12, v40
	s_wait_alu 0xfffd
	v_cndmask_b32_e64 v7, 0, 1, vcc_lo
	v_lshrrev_b32_e32 v8, 8, v43
	ds_load_2addr_b32 v[0:1], v10 offset0:94 offset1:144
	v_cmp_gt_i32_e32 vcc_lo, 1, v64
	v_and_or_b32 v2, 0x8000, v39, v25
	v_and_b32_e32 v5, 0xffff, v5
	v_and_or_b32 v12, 0xffe, v8, v7
	global_store_b32 v[34:35], v6, off
	s_wait_alu 0xfffd
	v_cndmask_b32_e32 v4, v4, v3, vcc_lo
	v_sub_nc_u32_e32 v3, 0x3f1, v9
	v_lshl_or_b32 v8, v2, 16, v5
	v_or_b32_e32 v6, 0x1000, v12
	v_add_co_u32 v2, vcc_lo, v34, s22
	v_and_b32_e32 v5, 7, v4
	v_med3_i32 v7, v3, 0, 13
	s_wait_alu 0xfffd
	v_add_co_ci_u32_e32 v3, vcc_lo, s23, v35, vcc_lo
	v_lshrrev_b32_e32 v4, 2, v4
	v_cmp_lt_i32_e32 vcc_lo, 5, v5
	v_lshrrev_b32_e32 v16, v7, v6
	v_cmp_eq_u32_e64 s0, 3, v5
	s_wait_dscnt 0x0
	v_lshrrev_b32_e32 v18, 16, v0
	s_wait_loadcnt 0x4
	v_lshrrev_b32_e32 v20, 16, v17
	v_and_or_b32 v23, 0x1ff, v45, v44
	v_lshlrev_b32_e32 v7, v7, v16
	s_or_b32 vcc_lo, s0, vcc_lo
	v_add_nc_u32_e32 v24, 0xfffffc10, v9
	s_wait_alu 0xfffe
	v_add_co_ci_u32_e32 v21, vcc_lo, 0, v4, vcc_lo
	v_mul_f64_e32 v[4:5], s[24:25], v[46:47]
	v_mul_f16_e32 v22, v18, v20
	v_cmp_ne_u32_e32 vcc_lo, v7, v6
	v_lshrrev_b32_e32 v9, 8, v45
	v_lshl_or_b32 v25, v24, 12, v12
	global_store_b32 v[2:3], v8, off
	v_fmac_f16_e32 v22, v0, v17
	s_wait_alu 0xfffd
	v_cndmask_b32_e64 v6, 0, 1, vcc_lo
	v_cmp_ne_u32_e32 vcc_lo, 0, v23
	v_bfe_u32 v23, v45, 20, 11
	v_mul_f16_e32 v0, v0, v20
	v_cvt_f32_f16_e32 v22, v22
	v_or_b32_e32 v16, v16, v6
	s_wait_alu 0xfffd
	v_cndmask_b32_e64 v7, 0, 1, vcc_lo
	v_cmp_ne_u32_e32 vcc_lo, 0, v40
	v_fma_f16 v0, v17, v18, -v0
	v_add_nc_u32_e32 v20, 0xfffffc10, v23
	s_delay_alu instid0(VALU_DEP_4)
	v_and_or_b32 v26, 0xffe, v9, v7
	v_cvt_f64_f32_e32 v[6:7], v22
	s_wait_alu 0xfffd
	v_cndmask_b32_e64 v22, 0, 1, vcc_lo
	v_cmp_gt_i32_e32 vcc_lo, 1, v24
	v_sub_nc_u32_e32 v9, 0x3f1, v23
	v_cvt_f32_f16_e32 v0, v0
	v_lshl_or_b32 v18, v20, 12, v26
	v_lshl_or_b32 v22, v22, 9, 0x7c00
	s_wait_alu 0xfffd
	v_cndmask_b32_e32 v16, v25, v16, vcc_lo
	v_cmp_gt_i32_e32 vcc_lo, 31, v64
	v_or_b32_e32 v25, 0x1000, v26
	v_med3_i32 v9, v9, 0, 13
	s_delay_alu instid0(VALU_DEP_4)
	v_and_b32_e32 v27, 7, v16
	s_wait_alu 0xfffd
	v_cndmask_b32_e32 v21, 0x7c00, v21, vcc_lo
	v_cmp_eq_u32_e32 vcc_lo, 0x40f, v64
	v_lshrrev_b32_e32 v8, v9, v25
	v_lshrrev_b32_e32 v16, 2, v16
	v_cmp_eq_u32_e64 s0, 3, v27
	s_wait_alu 0xfffd
	v_cndmask_b32_e32 v21, v21, v22, vcc_lo
	v_cmp_lt_i32_e32 vcc_lo, 5, v27
	v_lshlrev_b32_e32 v9, v9, v8
	v_and_or_b32 v4, 0x1ff, v5, v4
	v_lshrrev_b32_e32 v23, 8, v5
	v_lshrrev_b32_e32 v22, 16, v41
	s_or_b32 vcc_lo, s0, vcc_lo
	v_cmp_ne_u32_e64 s1, v9, v25
	s_wait_alu 0xfffe
	v_add_co_ci_u32_e32 v16, vcc_lo, 0, v16, vcc_lo
	v_cmp_ne_u32_e32 vcc_lo, 0, v4
	v_and_or_b32 v21, 0x8000, v22, v21
	s_wait_alu 0xf1ff
	v_cndmask_b32_e64 v9, 0, 1, s1
	v_cmp_eq_u32_e64 s1, 0x40f, v20
	s_wait_alu 0xfffd
	v_cndmask_b32_e64 v4, 0, 1, vcc_lo
	v_cmp_ne_u32_e32 vcc_lo, 0, v12
	v_or_b32_e32 v17, v8, v9
	v_cvt_f64_f32_e32 v[8:9], v0
	v_bfe_u32 v0, v5, 20, 11
	v_mul_f64_e32 v[6:7], s[24:25], v[6:7]
	s_wait_alu 0xfffd
	v_cndmask_b32_e64 v12, 0, 1, vcc_lo
	v_cmp_gt_i32_e32 vcc_lo, 1, v20
	v_and_or_b32 v4, 0xffe, v23, v4
	v_lshrrev_b32_e32 v5, 16, v5
	s_delay_alu instid0(VALU_DEP_4)
	v_lshl_or_b32 v12, v12, 9, 0x7c00
	s_wait_alu 0xfffd
	v_cndmask_b32_e32 v17, v18, v17, vcc_lo
	v_cmp_gt_i32_e32 vcc_lo, 31, v24
	v_sub_nc_u32_e32 v18, 0x3f1, v0
	v_or_b32_e32 v25, 0x1000, v4
	s_wait_alu 0xfffd
	v_dual_cndmask_b32 v16, 0x7c00, v16 :: v_dual_and_b32 v23, 7, v17
	v_cmp_eq_u32_e32 vcc_lo, 0x40f, v24
	v_med3_i32 v18, v18, 0, 13
	s_wait_loadcnt 0x3
	v_lshrrev_b32_e32 v24, 16, v14
	v_cmp_eq_u32_e64 s0, 3, v23
	s_wait_alu 0xfffd
	v_cndmask_b32_e32 v12, v16, v12, vcc_lo
	v_lshrrev_b32_e32 v16, 16, v43
	v_lshrrev_b32_e32 v22, v18, v25
	v_cmp_lt_i32_e32 vcc_lo, 5, v23
	s_delay_alu instid0(VALU_DEP_3) | instskip(SKIP_1) | instid1(VALU_DEP_4)
	v_and_or_b32 v12, 0x8000, v16, v12
	v_lshrrev_b32_e32 v16, 2, v17
	v_lshlrev_b32_e32 v18, v18, v22
	s_or_b32 vcc_lo, s0, vcc_lo
	v_and_b32_e32 v17, 0xffff, v21
	v_add_nc_u32_e32 v21, 0xfffffc10, v0
	s_wait_alu 0xfffe
	v_add_co_ci_u32_e32 v16, vcc_lo, 0, v16, vcc_lo
	v_cmp_ne_u32_e32 vcc_lo, v18, v25
	v_lshl_or_b32 v23, v12, 16, v17
	v_lshrrev_b32_e32 v0, 16, v1
	v_mul_f64_e32 v[8:9], s[24:25], v[8:9]
	s_wait_alu 0xfffd
	v_cndmask_b32_e64 v12, 0, 1, vcc_lo
	v_cmp_gt_i32_e32 vcc_lo, 31, v20
	v_and_or_b32 v6, 0x1ff, v7, v6
	v_mul_f16_e32 v17, v0, v24
	v_bfe_u32 v25, v7, 20, 11
	v_or_b32_e32 v12, v22, v12
	s_wait_alu 0xfffd
	v_cndmask_b32_e32 v18, 0x7c00, v16, vcc_lo
	v_cmp_ne_u32_e32 vcc_lo, 0, v26
	v_lshl_or_b32 v16, v21, 12, v4
	v_fmac_f16_e32 v17, v1, v14
	v_sub_nc_u32_e32 v27, 0x3f1, v25
	v_lshrrev_b32_e32 v20, 16, v45
	s_wait_alu 0xfffd
	v_cndmask_b32_e64 v22, 0, 1, vcc_lo
	v_cmp_gt_i32_e32 vcc_lo, 1, v21
	v_cvt_f32_f16_e32 v17, v17
	v_med3_i32 v27, v27, 0, 13
	v_mul_f16_e32 v1, v1, v24
	v_lshl_or_b32 v22, v22, 9, 0x7c00
	s_wait_alu 0xfffd
	v_cndmask_b32_e32 v12, v16, v12, vcc_lo
	v_cmp_ne_u32_e32 vcc_lo, 0, v6
	v_lshrrev_b32_e32 v16, 8, v7
	v_fma_f16 v0, v14, v0, -v1
	v_cndmask_b32_e64 v18, v18, v22, s1
	v_and_b32_e32 v26, 7, v12
	s_wait_alu 0xfffd
	v_cndmask_b32_e64 v6, 0, 1, vcc_lo
	v_lshrrev_b32_e32 v12, 2, v12
	v_lshrrev_b32_e32 v7, 16, v7
	v_and_or_b32 v18, 0x8000, v20, v18
	v_cmp_lt_i32_e32 vcc_lo, 5, v26
	v_and_or_b32 v6, 0xffe, v16, v6
	v_cvt_f64_f32_e32 v[16:17], v17
	v_cmp_eq_u32_e64 s0, 3, v26
	v_and_b32_e32 v18, 0xffff, v18
	s_delay_alu instid0(VALU_DEP_4) | instskip(NEXT) | instid1(VALU_DEP_3)
	v_or_b32_e32 v26, 0x1000, v6
	s_or_b32 vcc_lo, s0, vcc_lo
	v_and_or_b32 v8, 0x1ff, v9, v8
	s_wait_alu 0xfffe
	v_add_co_ci_u32_e32 v12, vcc_lo, 0, v12, vcc_lo
	v_lshrrev_b32_e32 v22, v27, v26
	v_cmp_ne_u32_e32 vcc_lo, 0, v4
	v_lshrrev_b32_e32 v24, 8, v9
	s_delay_alu instid0(VALU_DEP_3) | instskip(SKIP_3) | instid1(VALU_DEP_2)
	v_lshlrev_b32_e32 v20, v27, v22
	s_wait_alu 0xfffd
	v_cndmask_b32_e64 v4, 0, 1, vcc_lo
	v_cmp_gt_i32_e32 vcc_lo, 31, v21
	v_lshl_or_b32 v4, v4, 9, 0x7c00
	s_wait_alu 0xfffd
	v_cndmask_b32_e32 v12, 0x7c00, v12, vcc_lo
	v_cmp_ne_u32_e32 vcc_lo, v20, v26
	v_add_nc_u32_e32 v25, 0xfffffc10, v25
	v_bfe_u32 v26, v9, 20, 11
	v_lshrrev_b32_e32 v9, 16, v9
	s_wait_alu 0xfffd
	v_cndmask_b32_e64 v20, 0, 1, vcc_lo
	v_cmp_ne_u32_e32 vcc_lo, 0, v8
	v_lshl_or_b32 v14, v25, 12, v6
	s_delay_alu instid0(VALU_DEP_3)
	v_or_b32_e32 v1, v22, v20
	s_wait_alu 0xfffd
	v_cndmask_b32_e64 v8, 0, 1, vcc_lo
	v_cmp_gt_i32_e32 vcc_lo, 1, v25
	v_cvt_f32_f16_e32 v22, v0
	v_sub_nc_u32_e32 v20, 0x3f1, v26
	s_delay_alu instid0(VALU_DEP_4)
	v_and_or_b32 v8, 0xffe, v24, v8
	s_wait_alu 0xfffd
	v_cndmask_b32_e32 v14, v14, v1, vcc_lo
	v_cmp_eq_u32_e32 vcc_lo, 0x40f, v21
	v_mul_f64_e32 v[0:1], s[24:25], v[16:17]
	v_cvt_f64_f32_e32 v[16:17], v22
	v_med3_i32 v27, v20, 0, 13
	ds_load_2addr_b32 v[20:21], v10 offset0:194 offset1:244
	s_wait_alu 0xfffd
	v_cndmask_b32_e32 v4, v12, v4, vcc_lo
	v_and_b32_e32 v10, 7, v14
	v_or_b32_e32 v24, 0x1000, v8
	v_add_co_u32 v2, vcc_lo, v2, s22
	s_wait_alu 0xfffd
	v_add_co_ci_u32_e32 v3, vcc_lo, s23, v3, vcc_lo
	v_cmp_lt_i32_e32 vcc_lo, 5, v10
	v_cmp_eq_u32_e64 s0, 3, v10
	v_lshrrev_b32_e32 v12, v27, v24
	v_and_or_b32 v22, 0x8000, v5, v4
	v_lshrrev_b32_e32 v5, 2, v14
	v_add_nc_u32_e32 v10, 0xfffffc10, v26
	s_or_b32 vcc_lo, s0, vcc_lo
	s_delay_alu instid0(VALU_DEP_3)
	v_lshl_or_b32 v18, v22, 16, v18
	s_wait_alu 0xfffe
	v_add_co_ci_u32_e32 v5, vcc_lo, 0, v5, vcc_lo
	v_lshlrev_b32_e32 v4, v27, v12
	v_cmp_ne_u32_e32 vcc_lo, 0, v6
	s_wait_dscnt 0x0
	v_lshrrev_b32_e32 v14, 16, v20
	s_delay_alu instid0(VALU_DEP_3)
	v_cmp_ne_u32_e64 s1, v4, v24
	s_wait_loadcnt 0x2
	v_lshrrev_b32_e32 v24, 16, v13
	s_wait_alu 0xfffd
	v_cndmask_b32_e64 v6, 0, 1, vcc_lo
	v_cmp_gt_i32_e32 vcc_lo, 1, v10
	s_wait_alu 0xf1ff
	v_cndmask_b32_e64 v4, 0, 1, s1
	v_mul_f16_e32 v26, v14, v24
	v_lshl_or_b32 v6, v6, 9, 0x7c00
	s_delay_alu instid0(VALU_DEP_3) | instskip(SKIP_1) | instid1(VALU_DEP_4)
	v_or_b32_e32 v4, v12, v4
	v_lshl_or_b32 v12, v10, 12, v8
	v_fmac_f16_e32 v26, v20, v13
	v_and_or_b32 v0, 0x1ff, v1, v0
	s_wait_alu 0xfffd
	s_delay_alu instid0(VALU_DEP_3) | instskip(SKIP_1) | instid1(VALU_DEP_3)
	v_cndmask_b32_e32 v12, v12, v4, vcc_lo
	v_cmp_gt_i32_e32 vcc_lo, 31, v25
	v_cmp_ne_u32_e64 s0, 0, v0
	s_wait_alu 0xfffd
	s_delay_alu instid0(VALU_DEP_3)
	v_dual_cndmask_b32 v27, 0x7c00, v5 :: v_dual_and_b32 v28, 7, v12
	v_mul_f64_e32 v[4:5], s[24:25], v[16:17]
	v_cvt_f32_f16_e32 v16, v26
	v_cmp_eq_u32_e32 vcc_lo, 0x40f, v25
	s_wait_alu 0xf1ff
	v_cndmask_b32_e64 v0, 0, 1, s0
	v_cmp_eq_u32_e64 s0, 3, v28
	v_lshrrev_b32_e32 v25, 8, v1
	v_cvt_f64_f32_e32 v[16:17], v16
	s_wait_alu 0xfffd
	v_cndmask_b32_e32 v6, v27, v6, vcc_lo
	v_cmp_lt_i32_e32 vcc_lo, 5, v28
	v_bfe_u32 v26, v1, 20, 11
	v_lshrrev_b32_e32 v12, 2, v12
	v_and_or_b32 v0, 0xffe, v25, v0
	v_and_or_b32 v28, 0x8000, v7, v6
	s_or_b32 vcc_lo, s0, vcc_lo
	v_sub_nc_u32_e32 v25, 0x3f1, v26
	s_wait_alu 0xfffe
	v_add_co_ci_u32_e32 v12, vcc_lo, 0, v12, vcc_lo
	v_cmp_ne_u32_e32 vcc_lo, 0, v8
	v_or_b32_e32 v27, 0x1000, v0
	v_med3_i32 v25, v25, 0, 13
	v_and_b32_e32 v28, 0xffff, v28
	v_lshrrev_b32_e32 v1, 16, v1
	s_wait_alu 0xfffd
	v_cndmask_b32_e64 v8, 0, 1, vcc_lo
	v_cmp_gt_i32_e32 vcc_lo, 31, v10
	v_lshrrev_b32_e32 v22, v25, v27
	s_delay_alu instid0(VALU_DEP_3)
	v_lshl_or_b32 v8, v8, 9, 0x7c00
	s_wait_alu 0xfffd
	v_cndmask_b32_e32 v12, 0x7c00, v12, vcc_lo
	v_cmp_eq_u32_e32 vcc_lo, 0x40f, v10
	v_lshlrev_b32_e32 v10, v25, v22
	s_wait_alu 0xfffd
	s_delay_alu instid0(VALU_DEP_3)
	v_cndmask_b32_e32 v8, v12, v8, vcc_lo
	v_add_co_u32 v6, vcc_lo, v2, s22
	s_wait_alu 0xfffd
	v_add_co_ci_u32_e32 v7, vcc_lo, s23, v3, vcc_lo
	v_and_or_b32 v4, 0x1ff, v5, v4
	v_cmp_ne_u32_e32 vcc_lo, v10, v27
	v_mul_f16_e32 v12, v20, v24
	v_and_or_b32 v25, 0x8000, v9, v8
	v_add_nc_u32_e32 v20, 0xfffffc10, v26
	v_mul_f64_e32 v[8:9], s[24:25], v[16:17]
	s_wait_alu 0xfffd
	v_cndmask_b32_e64 v10, 0, 1, vcc_lo
	v_cmp_ne_u32_e32 vcc_lo, 0, v4
	v_fma_f16 v12, v13, v14, -v12
	v_lshrrev_b32_e32 v13, 8, v5
	v_bfe_u32 v14, v5, 20, 11
	v_or_b32_e32 v10, v22, v10
	s_wait_alu 0xfffd
	v_cndmask_b32_e64 v4, 0, 1, vcc_lo
	v_lshl_or_b32 v16, v20, 12, v0
	v_cvt_f32_f16_e32 v12, v12
	v_sub_nc_u32_e32 v17, 0x3f1, v14
	v_cmp_gt_i32_e32 vcc_lo, 1, v20
	v_and_or_b32 v4, 0xffe, v13, v4
	global_store_b32 v[2:3], v23, off
	global_store_b32 v[6:7], v18, off
	v_cvt_f64_f32_e32 v[12:13], v12
	v_med3_i32 v17, v17, 0, 13
	s_wait_alu 0xfffd
	v_cndmask_b32_e32 v10, v16, v10, vcc_lo
	v_or_b32_e32 v16, 0x1000, v4
	v_add_co_u32 v2, vcc_lo, v6, s22
	s_wait_alu 0xfffd
	v_add_co_ci_u32_e32 v3, vcc_lo, s23, v7, vcc_lo
	s_delay_alu instid0(VALU_DEP_3)
	v_lshrrev_b32_e32 v23, v17, v16
	v_and_b32_e32 v22, 7, v10
	v_lshrrev_b32_e32 v7, 2, v10
	v_add_nc_u32_e32 v10, 0xfffffc10, v14
	v_lshl_or_b32 v18, v25, 16, v28
	v_lshlrev_b32_e32 v6, v17, v23
	v_cmp_lt_i32_e32 vcc_lo, 5, v22
	v_cmp_eq_u32_e64 s0, 3, v22
	v_lshrrev_b32_e32 v17, 16, v21
	s_wait_loadcnt 0x1
	v_lshrrev_b32_e32 v22, 16, v15
	v_cmp_ne_u32_e64 s1, v6, v16
	v_lshrrev_b32_e32 v5, 16, v5
	s_or_b32 vcc_lo, s0, vcc_lo
	s_wait_alu 0xfffe
	v_add_co_ci_u32_e32 v16, vcc_lo, 0, v7, vcc_lo
	v_cndmask_b32_e64 v6, 0, 1, s1
	v_mul_f16_e32 v14, v17, v22
	v_cmp_ne_u32_e32 vcc_lo, 0, v0
	v_lshl_or_b32 v7, v10, 12, v4
	v_and_or_b32 v8, 0x1ff, v9, v8
	v_or_b32_e32 v6, v23, v6
	v_fmac_f16_e32 v14, v21, v15
	s_wait_alu 0xfffd
	v_cndmask_b32_e64 v0, 0, 1, vcc_lo
	v_cmp_gt_i32_e32 vcc_lo, 1, v10
	v_lshrrev_b32_e32 v24, 8, v9
	v_cmp_eq_u32_e64 s1, 0x40f, v20
	v_cvt_f32_f16_e32 v14, v14
	v_lshl_or_b32 v0, v0, 9, 0x7c00
	s_wait_alu 0xfffd
	v_cndmask_b32_e32 v23, v7, v6, vcc_lo
	v_cmp_ne_u32_e32 vcc_lo, 0, v8
	v_mul_f64_e32 v[12:13], s[24:25], v[12:13]
	v_cvt_f64_f32_e32 v[6:7], v14
	v_bfe_u32 v14, v9, 20, 11
	v_and_b32_e32 v25, 7, v23
	s_wait_alu 0xfffd
	v_cndmask_b32_e64 v8, 0, 1, vcc_lo
	v_cmp_gt_i32_e32 vcc_lo, 31, v20
	s_delay_alu instid0(VALU_DEP_3) | instskip(NEXT) | instid1(VALU_DEP_3)
	v_cmp_eq_u32_e64 s0, 3, v25
	v_and_or_b32 v8, 0xffe, v24, v8
	s_wait_alu 0xfffd
	v_cndmask_b32_e32 v16, 0x7c00, v16, vcc_lo
	v_sub_nc_u32_e32 v24, 0x3f1, v14
	v_cmp_lt_i32_e32 vcc_lo, 5, v25
	v_or_b32_e32 v25, 0x1000, v8
	s_wait_alu 0xf1ff
	v_cndmask_b32_e64 v0, v16, v0, s1
	v_lshrrev_b32_e32 v16, 2, v23
	v_med3_i32 v24, v24, 0, 13
	s_or_b32 vcc_lo, s0, vcc_lo
	s_delay_alu instid0(VALU_DEP_3) | instskip(SKIP_4) | instid1(VALU_DEP_2)
	v_and_or_b32 v23, 0x8000, v1, v0
	s_wait_alu 0xfffe
	v_add_co_ci_u32_e32 v16, vcc_lo, 0, v16, vcc_lo
	v_lshrrev_b32_e32 v20, v24, v25
	v_cmp_ne_u32_e32 vcc_lo, 0, v4
	v_lshlrev_b32_e32 v0, v24, v20
	s_wait_alu 0xfffd
	v_cndmask_b32_e64 v4, 0, 1, vcc_lo
	v_cmp_gt_i32_e32 vcc_lo, 31, v10
	v_add_nc_u32_e32 v24, 0x800, v31
	s_delay_alu instid0(VALU_DEP_3)
	v_lshl_or_b32 v4, v4, 9, 0x7c00
	s_wait_alu 0xfffd
	v_cndmask_b32_e32 v1, 0x7c00, v16, vcc_lo
	v_cmp_ne_u32_e32 vcc_lo, v0, v25
	v_add_nc_u32_e32 v25, 0xfffffc10, v14
	v_mul_f16_e32 v14, v21, v22
	v_mul_f64_e32 v[6:7], s[24:25], v[6:7]
	v_and_or_b32 v12, 0x1ff, v13, v12
	s_wait_alu 0xfffd
	v_cndmask_b32_e64 v16, 0, 1, vcc_lo
	v_cmp_eq_u32_e32 vcc_lo, 0x40f, v10
	v_fma_f16 v14, v15, v17, -v14
	v_lshrrev_b32_e32 v15, 8, v13
	s_wait_loadcnt 0x0
	v_lshrrev_b32_e32 v22, 16, v19
	v_or_b32_e32 v10, v20, v16
	s_wait_alu 0xfffd
	v_cndmask_b32_e32 v4, v1, v4, vcc_lo
	ds_load_2addr_b32 v[0:1], v24 offset0:38 offset1:88
	v_lshl_or_b32 v16, v25, 12, v8
	v_cmp_gt_i32_e32 vcc_lo, 1, v25
	v_cvt_f32_f16_e32 v14, v14
	v_and_or_b32 v17, 0x8000, v5, v4
	s_wait_alu 0xfffd
	v_cndmask_b32_e32 v10, v16, v10, vcc_lo
	v_cmp_ne_u32_e32 vcc_lo, 0, v12
	v_bfe_u32 v16, v13, 20, 11
	v_cvt_f64_f32_e32 v[4:5], v14
	s_delay_alu instid0(VALU_DEP_4)
	v_and_b32_e32 v20, 7, v10
	s_wait_alu 0xfffd
	v_cndmask_b32_e64 v12, 0, 1, vcc_lo
	v_sub_nc_u32_e32 v14, 0x3f1, v16
	v_lshrrev_b32_e32 v10, 2, v10
	v_cmp_lt_i32_e32 vcc_lo, 5, v20
	s_delay_alu instid0(VALU_DEP_4)
	v_and_or_b32 v12, 0xffe, v15, v12
	v_cmp_eq_u32_e64 s0, 3, v20
	s_wait_dscnt 0x0
	v_lshrrev_b32_e32 v21, 16, v0
	v_and_b32_e32 v15, 0xffff, v23
	v_med3_i32 v14, v14, 0, 13
	v_or_b32_e32 v23, 0x1000, v12
	s_or_b32 vcc_lo, s0, vcc_lo
	v_mul_f16_e32 v26, v21, v22
	s_wait_alu 0xfffe
	v_add_co_ci_u32_e32 v10, vcc_lo, 0, v10, vcc_lo
	v_lshl_or_b32 v20, v17, 16, v15
	v_lshrrev_b32_e32 v17, v14, v23
	v_fmac_f16_e32 v26, v0, v19
	v_cmp_ne_u32_e32 vcc_lo, 0, v8
	v_and_or_b32 v6, 0x1ff, v7, v6
	v_mul_f16_e32 v0, v0, v22
	v_lshlrev_b32_e32 v27, v14, v17
	v_cvt_f32_f16_e32 v14, v26
	s_wait_alu 0xfffd
	v_cndmask_b32_e64 v8, 0, 1, vcc_lo
	v_cmp_gt_i32_e32 vcc_lo, 31, v25
	v_add_nc_u32_e32 v26, 0xfffffc10, v16
	v_lshrrev_b32_e32 v16, 8, v7
	v_cvt_f64_f32_e32 v[14:15], v14
	v_bfe_u32 v22, v7, 20, 11
	s_wait_alu 0xfffd
	v_cndmask_b32_e32 v10, 0x7c00, v10, vcc_lo
	v_cmp_ne_u32_e32 vcc_lo, v27, v23
	v_fma_f16 v0, v19, v21, -v0
	v_lshl_or_b32 v19, v26, 12, v12
	v_lshl_or_b32 v8, v8, 9, 0x7c00
	v_lshrrev_b32_e32 v7, 16, v7
	s_wait_alu 0xfffd
	v_cndmask_b32_e64 v23, 0, 1, vcc_lo
	v_cmp_ne_u32_e32 vcc_lo, 0, v6
	v_mul_f64_e32 v[4:5], s[24:25], v[4:5]
	v_cvt_f32_f16_e32 v0, v0
	s_delay_alu instid0(VALU_DEP_4) | instskip(SKIP_3) | instid1(VALU_DEP_2)
	v_or_b32_e32 v17, v17, v23
	s_wait_alu 0xfffd
	v_cndmask_b32_e64 v6, 0, 1, vcc_lo
	v_cmp_gt_i32_e32 vcc_lo, 1, v26
	v_and_or_b32 v6, 0xffe, v16, v6
	v_sub_nc_u32_e32 v16, 0x3f1, v22
	s_wait_alu 0xfffd
	v_cndmask_b32_e32 v19, v19, v17, vcc_lo
	v_cmp_eq_u32_e32 vcc_lo, 0x40f, v25
	v_or_b32_e32 v21, 0x1000, v6
	v_med3_i32 v23, v16, 0, 13
	s_delay_alu instid0(VALU_DEP_4)
	v_and_b32_e32 v25, 7, v19
	v_cvt_f64_f32_e32 v[16:17], v0
	s_wait_alu 0xfffd
	v_cndmask_b32_e32 v0, v10, v8, vcc_lo
	v_lshrrev_b32_e32 v10, 16, v9
	v_add_co_u32 v8, vcc_lo, v2, s22
	v_lshrrev_b32_e32 v27, v23, v21
	s_wait_alu 0xfffd
	v_add_co_ci_u32_e32 v9, vcc_lo, s23, v3, vcc_lo
	v_cmp_lt_i32_e32 vcc_lo, 5, v25
	v_cmp_eq_u32_e64 s0, 3, v25
	v_and_or_b32 v0, 0x8000, v10, v0
	v_lshrrev_b32_e32 v10, 2, v19
	v_lshlrev_b32_e32 v23, v23, v27
	v_mul_f64_e32 v[14:15], s[24:25], v[14:15]
	s_or_b32 vcc_lo, s0, vcc_lo
	v_and_b32_e32 v0, 0xffff, v0
	s_wait_alu 0xfffe
	v_add_co_ci_u32_e32 v10, vcc_lo, 0, v10, vcc_lo
	v_cmp_ne_u32_e64 s1, v23, v21
	v_cmp_ne_u32_e32 vcc_lo, 0, v12
	v_add_nc_u32_e32 v21, 0xfffffc10, v22
	v_and_or_b32 v4, 0x1ff, v5, v4
	v_lshrrev_b32_e32 v25, 8, v5
	s_wait_alu 0xf1ff
	v_cndmask_b32_e64 v19, 0, 1, s1
	s_wait_alu 0xfffd
	v_cndmask_b32_e64 v12, 0, 1, vcc_lo
	v_cmp_gt_i32_e32 vcc_lo, 31, v26
	v_lshl_or_b32 v22, v21, 12, v6
	v_or_b32_e32 v19, v27, v19
	s_delay_alu instid0(VALU_DEP_4)
	v_lshl_or_b32 v12, v12, 9, 0x7c00
	s_wait_alu 0xfffd
	v_cndmask_b32_e32 v10, 0x7c00, v10, vcc_lo
	v_cmp_gt_i32_e32 vcc_lo, 1, v21
	s_wait_alu 0xfffd
	v_cndmask_b32_e32 v19, v22, v19, vcc_lo
	v_cmp_eq_u32_e32 vcc_lo, 0x40f, v26
	v_lshrrev_b32_e32 v22, 16, v13
	s_wait_alu 0xfffd
	s_delay_alu instid0(VALU_DEP_3) | instskip(SKIP_3) | instid1(VALU_DEP_4)
	v_dual_cndmask_b32 v10, v10, v12 :: v_dual_and_b32 v23, 7, v19
	v_cmp_ne_u32_e32 vcc_lo, 0, v4
	v_mul_f64_e32 v[12:13], s[24:25], v[16:17]
	v_bfe_u32 v16, v5, 20, 11
	v_cmp_eq_u32_e64 s0, 3, v23
	v_and_or_b32 v10, 0x8000, v22, v10
	s_wait_alu 0xfffd
	v_cndmask_b32_e64 v4, 0, 1, vcc_lo
	v_cmp_lt_i32_e32 vcc_lo, 5, v23
	v_sub_nc_u32_e32 v17, 0x3f1, v16
	v_and_or_b32 v14, 0x1ff, v15, v14
	v_lshl_or_b32 v0, v10, 16, v0
	v_lshrrev_b32_e32 v10, 2, v19
	v_and_or_b32 v4, 0xffe, v25, v4
	s_or_b32 vcc_lo, s0, vcc_lo
	v_med3_i32 v17, v17, 0, 13
	v_lshrrev_b32_e32 v23, 8, v15
	s_wait_alu 0xfffe
	v_add_co_ci_u32_e32 v10, vcc_lo, 0, v10, vcc_lo
	v_or_b32_e32 v19, 0x1000, v4
	v_cmp_ne_u32_e32 vcc_lo, 0, v6
	v_bfe_u32 v25, v15, 20, 11
	v_add_nc_u32_e32 v16, 0xfffffc10, v16
	v_lshrrev_b32_e32 v5, 16, v5
	v_lshrrev_b32_e32 v22, v17, v19
	s_wait_alu 0xfffd
	v_cndmask_b32_e64 v6, 0, 1, vcc_lo
	v_cmp_gt_i32_e32 vcc_lo, 31, v21
	s_delay_alu instid0(VALU_DEP_3) | instskip(NEXT) | instid1(VALU_DEP_3)
	v_lshlrev_b32_e32 v17, v17, v22
	v_lshl_or_b32 v6, v6, 9, 0x7c00
	s_wait_alu 0xfffd
	v_cndmask_b32_e32 v10, 0x7c00, v10, vcc_lo
	v_cmp_ne_u32_e32 vcc_lo, 0, v14
	s_wait_alu 0xfffd
	v_cndmask_b32_e64 v14, 0, 1, vcc_lo
	v_cmp_ne_u32_e32 vcc_lo, v17, v19
	v_sub_nc_u32_e32 v19, 0x3f1, v25
	v_and_or_b32 v12, 0x1ff, v13, v12
	s_delay_alu instid0(VALU_DEP_4)
	v_and_or_b32 v14, 0xffe, v23, v14
	s_wait_alu 0xfffd
	v_cndmask_b32_e64 v17, 0, 1, vcc_lo
	v_cmp_eq_u32_e32 vcc_lo, 0x40f, v21
	v_med3_i32 v19, v19, 0, 13
	v_bfe_u32 v23, v13, 20, 11
	v_or_b32_e32 v21, 0x1000, v14
	s_wait_alu 0xfffd
	v_cndmask_b32_e32 v6, v10, v6, vcc_lo
	v_or_b32_e32 v10, v22, v17
	v_lshl_or_b32 v17, v16, 12, v4
	v_cmp_gt_i32_e32 vcc_lo, 1, v16
	v_lshrrev_b32_e32 v22, 8, v13
	v_and_or_b32 v6, 0x8000, v7, v6
	s_wait_alu 0xfffd
	v_cndmask_b32_e32 v10, v17, v10, vcc_lo
	v_lshrrev_b32_e32 v17, v19, v21
	v_cmp_ne_u32_e32 vcc_lo, 0, v12
	v_and_b32_e32 v6, 0xffff, v6
	s_delay_alu instid0(VALU_DEP_4) | instskip(NEXT) | instid1(VALU_DEP_4)
	v_and_b32_e32 v26, 7, v10
	v_lshlrev_b32_e32 v19, v19, v17
	s_wait_alu 0xfffd
	v_cndmask_b32_e64 v12, 0, 1, vcc_lo
	v_lshrrev_b32_e32 v10, 2, v10
	v_cmp_lt_i32_e32 vcc_lo, 5, v26
	v_cmp_ne_u32_e64 s0, v19, v21
	s_delay_alu instid0(VALU_DEP_4)
	v_and_or_b32 v7, 0xffe, v22, v12
	v_sub_nc_u32_e32 v12, 0x3f1, v23
	v_add_nc_u32_e32 v22, 0xfffffc10, v25
	s_wait_alu 0xf1ff
	v_cndmask_b32_e64 v19, 0, 1, s0
	v_cmp_eq_u32_e64 s0, 3, v26
	v_or_b32_e32 v21, 0x1000, v7
	v_med3_i32 v12, v12, 0, 13
	v_lshl_or_b32 v25, v22, 12, v14
	v_or_b32_e32 v17, v17, v19
	s_or_b32 vcc_lo, s0, vcc_lo
	s_wait_alu 0xfffe
	v_add_co_ci_u32_e32 v10, vcc_lo, 0, v10, vcc_lo
	v_lshrrev_b32_e32 v19, v12, v21
	v_cmp_gt_i32_e32 vcc_lo, 1, v22
	s_wait_alu 0xfffd
	s_delay_alu instid0(VALU_DEP_2) | instskip(SKIP_3) | instid1(VALU_DEP_3)
	v_dual_cndmask_b32 v17, v25, v17 :: v_dual_lshlrev_b32 v12, v12, v19
	v_cmp_ne_u32_e32 vcc_lo, 0, v4
	s_wait_alu 0xfffd
	v_cndmask_b32_e64 v4, 0, 1, vcc_lo
	v_cmp_ne_u32_e32 vcc_lo, v12, v21
	v_add_nc_u32_e32 v21, 0xfffffc10, v23
	v_and_b32_e32 v23, 7, v17
	s_delay_alu instid0(VALU_DEP_4)
	v_lshl_or_b32 v4, v4, 9, 0x7c00
	s_wait_alu 0xfffd
	v_cndmask_b32_e64 v12, 0, 1, vcc_lo
	v_cmp_gt_i32_e32 vcc_lo, 31, v16
	v_cmp_gt_i32_e64 s1, 1, v21
	v_cmp_eq_u32_e64 s0, 3, v23
	s_delay_alu instid0(VALU_DEP_4)
	v_or_b32_e32 v12, v19, v12
	v_lshl_or_b32 v19, v21, 12, v7
	s_wait_alu 0xfffd
	v_cndmask_b32_e32 v10, 0x7c00, v10, vcc_lo
	v_cmp_lt_i32_e32 vcc_lo, 5, v23
	s_wait_alu 0xf1ff
	v_cndmask_b32_e64 v12, v19, v12, s1
	v_cmp_eq_u32_e64 s1, 0x40f, v16
	s_or_b32 vcc_lo, s0, vcc_lo
	s_delay_alu instid0(VALU_DEP_2) | instskip(NEXT) | instid1(VALU_DEP_2)
	v_and_b32_e32 v16, 7, v12
	v_cndmask_b32_e64 v4, v10, v4, s1
	v_lshrrev_b32_e32 v10, 2, v17
	v_lshrrev_b32_e32 v12, 2, v12
	v_cmp_gt_i32_e64 s1, 31, v22
	v_cmp_eq_u32_e64 s0, 3, v16
	s_wait_alu 0xfffe
	v_add_co_ci_u32_e32 v10, vcc_lo, 0, v10, vcc_lo
	v_cmp_ne_u32_e32 vcc_lo, 0, v14
	s_wait_alu 0xf1ff
	s_delay_alu instid0(VALU_DEP_2) | instskip(SKIP_3) | instid1(VALU_DEP_2)
	v_cndmask_b32_e64 v10, 0x7c00, v10, s1
	s_wait_alu 0xfffd
	v_cndmask_b32_e64 v14, 0, 1, vcc_lo
	v_cmp_lt_i32_e32 vcc_lo, 5, v16
	v_lshl_or_b32 v14, v14, 9, 0x7c00
	s_or_b32 vcc_lo, s0, vcc_lo
	s_wait_alu 0xfffe
	v_add_co_ci_u32_e32 v12, vcc_lo, 0, v12, vcc_lo
	v_cmp_ne_u32_e32 vcc_lo, 0, v7
	s_wait_alu 0xfffd
	v_cndmask_b32_e64 v7, 0, 1, vcc_lo
	v_cmp_eq_u32_e32 vcc_lo, 0x40f, v22
	s_delay_alu instid0(VALU_DEP_2)
	v_lshl_or_b32 v7, v7, 9, 0x7c00
	s_wait_alu 0xfffd
	v_cndmask_b32_e32 v10, v10, v14, vcc_lo
	v_cmp_gt_i32_e32 vcc_lo, 31, v21
	v_lshrrev_b32_e32 v14, 16, v15
	v_and_or_b32 v15, 0x8000, v5, v4
	s_wait_alu 0xfffd
	v_cndmask_b32_e32 v12, 0x7c00, v12, vcc_lo
	v_cmp_eq_u32_e32 vcc_lo, 0x40f, v21
	v_and_or_b32 v10, 0x8000, v14, v10
	v_lshl_or_b32 v14, v15, 16, v6
	s_wait_alu 0xfffd
	v_cndmask_b32_e32 v7, v12, v7, vcc_lo
	v_lshrrev_b32_e32 v12, 16, v13
	v_add_co_u32 v4, vcc_lo, v8, s22
	s_wait_alu 0xfffd
	v_add_co_ci_u32_e32 v5, vcc_lo, s23, v9, vcc_lo
	s_delay_alu instid0(VALU_DEP_3) | instskip(SKIP_4) | instid1(VALU_DEP_3)
	v_and_or_b32 v12, 0x8000, v12, v7
	v_and_b32_e32 v10, 0xffff, v10
	v_add_co_u32 v6, vcc_lo, v4, s22
	s_wait_alu 0xfffd
	v_add_co_ci_u32_e32 v7, vcc_lo, s23, v5, vcc_lo
	v_lshl_or_b32 v10, v12, 16, v10
	s_delay_alu instid0(VALU_DEP_3) | instskip(SKIP_1) | instid1(VALU_DEP_3)
	v_add_co_u32 v12, vcc_lo, v6, s22
	s_wait_alu 0xfffd
	v_add_co_ci_u32_e32 v13, vcc_lo, s23, v7, vcc_lo
	global_store_b32 v[2:3], v18, off
	global_store_b32 v[8:9], v20, off
	;; [unrolled: 1-line block ×5, first 2 shown]
	global_load_b32 v0, v31, s[20:21] offset:2400
	v_lshrrev_b32_e32 v2, 16, v1
	s_wait_loadcnt 0x0
	v_lshrrev_b32_e32 v3, 16, v0
	s_delay_alu instid0(VALU_DEP_1) | instskip(SKIP_1) | instid1(VALU_DEP_2)
	v_mul_f16_e32 v4, v2, v3
	v_mul_f16_e32 v3, v1, v3
	v_fmac_f16_e32 v4, v1, v0
	s_delay_alu instid0(VALU_DEP_2) | instskip(NEXT) | instid1(VALU_DEP_2)
	v_fma_f16 v0, v0, v2, -v3
	v_cvt_f32_f16_e32 v1, v4
	s_delay_alu instid0(VALU_DEP_2) | instskip(NEXT) | instid1(VALU_DEP_2)
	v_cvt_f32_f16_e32 v2, v0
	v_cvt_f64_f32_e32 v[0:1], v1
	s_delay_alu instid0(VALU_DEP_2) | instskip(NEXT) | instid1(VALU_DEP_2)
	v_cvt_f64_f32_e32 v[2:3], v2
	v_mul_f64_e32 v[0:1], s[24:25], v[0:1]
	s_delay_alu instid0(VALU_DEP_2) | instskip(NEXT) | instid1(VALU_DEP_2)
	v_mul_f64_e32 v[2:3], s[24:25], v[2:3]
	v_and_or_b32 v0, 0x1ff, v1, v0
	s_delay_alu instid0(VALU_DEP_2)
	v_and_or_b32 v2, 0x1ff, v3, v2
	v_lshrrev_b32_e32 v4, 8, v1
	v_bfe_u32 v5, v1, 20, 11
	v_lshrrev_b32_e32 v6, 8, v3
	v_cmp_ne_u32_e32 vcc_lo, 0, v0
	v_bfe_u32 v7, v3, 20, 11
	v_lshrrev_b32_e32 v1, 16, v1
	v_lshrrev_b32_e32 v3, 16, v3
	s_wait_alu 0xfffd
	v_cndmask_b32_e64 v0, 0, 1, vcc_lo
	v_cmp_ne_u32_e32 vcc_lo, 0, v2
	s_delay_alu instid0(VALU_DEP_2)
	v_and_or_b32 v0, 0xffe, v4, v0
	s_wait_alu 0xfffd
	v_cndmask_b32_e64 v2, 0, 1, vcc_lo
	v_sub_nc_u32_e32 v4, 0x3f1, v5
	v_add_nc_u32_e32 v5, 0xfffffc10, v5
	v_or_b32_e32 v8, 0x1000, v0
	s_delay_alu instid0(VALU_DEP_4) | instskip(SKIP_3) | instid1(VALU_DEP_4)
	v_and_or_b32 v2, 0xffe, v6, v2
	v_sub_nc_u32_e32 v6, 0x3f1, v7
	v_med3_i32 v4, v4, 0, 13
	v_add_nc_u32_e32 v7, 0xfffffc10, v7
	v_or_b32_e32 v9, 0x1000, v2
	s_delay_alu instid0(VALU_DEP_4) | instskip(NEXT) | instid1(VALU_DEP_4)
	v_med3_i32 v6, v6, 0, 13
	v_lshrrev_b32_e32 v10, v4, v8
	s_delay_alu instid0(VALU_DEP_2) | instskip(NEXT) | instid1(VALU_DEP_2)
	v_lshrrev_b32_e32 v14, v6, v9
	v_lshlrev_b32_e32 v4, v4, v10
	s_delay_alu instid0(VALU_DEP_2) | instskip(NEXT) | instid1(VALU_DEP_2)
	v_lshlrev_b32_e32 v6, v6, v14
	v_cmp_ne_u32_e32 vcc_lo, v4, v8
	v_lshl_or_b32 v8, v5, 12, v0
	s_wait_alu 0xfffd
	v_cndmask_b32_e64 v4, 0, 1, vcc_lo
	v_cmp_ne_u32_e32 vcc_lo, v6, v9
	v_lshl_or_b32 v9, v7, 12, v2
	s_delay_alu instid0(VALU_DEP_3) | instskip(SKIP_3) | instid1(VALU_DEP_2)
	v_or_b32_e32 v4, v10, v4
	s_wait_alu 0xfffd
	v_cndmask_b32_e64 v6, 0, 1, vcc_lo
	v_cmp_gt_i32_e32 vcc_lo, 1, v5
	v_or_b32_e32 v6, v14, v6
	s_wait_alu 0xfffd
	v_cndmask_b32_e32 v4, v8, v4, vcc_lo
	v_cmp_gt_i32_e32 vcc_lo, 1, v7
	s_delay_alu instid0(VALU_DEP_2) | instskip(SKIP_3) | instid1(VALU_DEP_3)
	v_and_b32_e32 v8, 7, v4
	s_wait_alu 0xfffd
	v_cndmask_b32_e32 v6, v9, v6, vcc_lo
	v_lshrrev_b32_e32 v4, 2, v4
	v_cmp_lt_i32_e32 vcc_lo, 5, v8
	v_cmp_eq_u32_e64 s0, 3, v8
	s_delay_alu instid0(VALU_DEP_4) | instskip(SKIP_1) | instid1(VALU_DEP_3)
	v_and_b32_e32 v9, 7, v6
	v_lshrrev_b32_e32 v6, 2, v6
	s_or_b32 vcc_lo, s0, vcc_lo
	s_delay_alu instid0(VALU_DEP_2)
	v_cmp_lt_i32_e64 s1, 5, v9
	s_wait_alu 0xfffe
	v_add_co_ci_u32_e32 v4, vcc_lo, 0, v4, vcc_lo
	v_cmp_eq_u32_e64 s2, 3, v9
	v_cmp_ne_u32_e32 vcc_lo, 0, v0
	s_wait_alu 0xfffd
	v_cndmask_b32_e64 v0, 0, 1, vcc_lo
	s_delay_alu instid0(VALU_DEP_3)
	s_or_b32 vcc_lo, s2, s1
	s_wait_alu 0xfffe
	v_add_co_ci_u32_e32 v6, vcc_lo, 0, v6, vcc_lo
	v_cmp_ne_u32_e32 vcc_lo, 0, v2
	v_lshl_or_b32 v0, v0, 9, 0x7c00
	s_wait_alu 0xfffd
	v_cndmask_b32_e64 v2, 0, 1, vcc_lo
	v_cmp_gt_i32_e32 vcc_lo, 31, v5
	s_delay_alu instid0(VALU_DEP_2)
	v_lshl_or_b32 v2, v2, 9, 0x7c00
	s_wait_alu 0xfffd
	v_cndmask_b32_e32 v4, 0x7c00, v4, vcc_lo
	v_cmp_gt_i32_e32 vcc_lo, 31, v7
	s_wait_alu 0xfffd
	v_cndmask_b32_e32 v6, 0x7c00, v6, vcc_lo
	v_cmp_eq_u32_e32 vcc_lo, 0x40f, v5
	s_wait_alu 0xfffd
	v_cndmask_b32_e32 v0, v4, v0, vcc_lo
	v_cmp_eq_u32_e32 vcc_lo, 0x40f, v7
	s_delay_alu instid0(VALU_DEP_2) | instskip(SKIP_2) | instid1(VALU_DEP_2)
	v_and_or_b32 v0, 0x8000, v1, v0
	s_wait_alu 0xfffd
	v_cndmask_b32_e32 v2, v6, v2, vcc_lo
	v_and_b32_e32 v0, 0xffff, v0
	s_delay_alu instid0(VALU_DEP_2) | instskip(NEXT) | instid1(VALU_DEP_1)
	v_and_or_b32 v1, 0x8000, v3, v2
	v_lshl_or_b32 v2, v1, 16, v0
	v_add_co_u32 v0, vcc_lo, v12, s22
	s_wait_alu 0xfffd
	v_add_co_ci_u32_e32 v1, vcc_lo, s23, v13, vcc_lo
	global_store_b32 v[0:1], v2, off
	global_load_b32 v4, v31, s[20:21] offset:2600
	ds_load_2addr_b32 v[2:3], v24 offset0:138 offset1:188
	s_wait_dscnt 0x0
	v_lshrrev_b32_e32 v5, 16, v2
	s_wait_loadcnt 0x0
	v_lshrrev_b32_e32 v6, 16, v4
	s_delay_alu instid0(VALU_DEP_1) | instskip(SKIP_1) | instid1(VALU_DEP_2)
	v_mul_f16_e32 v7, v5, v6
	v_mul_f16_e32 v6, v2, v6
	v_fmac_f16_e32 v7, v2, v4
	s_delay_alu instid0(VALU_DEP_2) | instskip(NEXT) | instid1(VALU_DEP_2)
	v_fma_f16 v2, v4, v5, -v6
	v_cvt_f32_f16_e32 v4, v7
	s_delay_alu instid0(VALU_DEP_2) | instskip(NEXT) | instid1(VALU_DEP_2)
	v_cvt_f32_f16_e32 v2, v2
	v_cvt_f64_f32_e32 v[4:5], v4
	s_delay_alu instid0(VALU_DEP_2) | instskip(NEXT) | instid1(VALU_DEP_2)
	v_cvt_f64_f32_e32 v[6:7], v2
	v_mul_f64_e32 v[4:5], s[24:25], v[4:5]
	s_delay_alu instid0(VALU_DEP_2) | instskip(NEXT) | instid1(VALU_DEP_2)
	v_mul_f64_e32 v[6:7], s[24:25], v[6:7]
	v_and_or_b32 v2, 0x1ff, v5, v4
	s_delay_alu instid0(VALU_DEP_2)
	v_and_or_b32 v6, 0x1ff, v7, v6
	v_lshrrev_b32_e32 v4, 8, v5
	v_bfe_u32 v8, v5, 20, 11
	v_lshrrev_b32_e32 v9, 8, v7
	v_cmp_ne_u32_e32 vcc_lo, 0, v2
	v_bfe_u32 v10, v7, 20, 11
	v_lshrrev_b32_e32 v5, 16, v5
	v_sub_nc_u32_e32 v12, 0x3f1, v8
	v_add_nc_u32_e32 v8, 0xfffffc10, v8
	s_wait_alu 0xfffd
	v_cndmask_b32_e64 v2, 0, 1, vcc_lo
	v_cmp_ne_u32_e32 vcc_lo, 0, v6
	v_lshrrev_b32_e32 v7, 16, v7
	s_delay_alu instid0(VALU_DEP_3) | instskip(SKIP_4) | instid1(VALU_DEP_3)
	v_and_or_b32 v2, 0xffe, v4, v2
	s_wait_alu 0xfffd
	v_cndmask_b32_e64 v6, 0, 1, vcc_lo
	v_sub_nc_u32_e32 v4, 0x3f1, v10
	v_add_nc_u32_e32 v10, 0xfffffc10, v10
	v_and_or_b32 v6, 0xffe, v9, v6
	v_med3_i32 v9, v12, 0, 13
	v_or_b32_e32 v12, 0x1000, v2
	v_med3_i32 v4, v4, 0, 13
	s_delay_alu instid0(VALU_DEP_4) | instskip(NEXT) | instid1(VALU_DEP_3)
	v_or_b32_e32 v13, 0x1000, v6
	v_lshrrev_b32_e32 v14, v9, v12
	s_delay_alu instid0(VALU_DEP_2) | instskip(NEXT) | instid1(VALU_DEP_2)
	v_lshrrev_b32_e32 v15, v4, v13
	v_lshlrev_b32_e32 v9, v9, v14
	s_delay_alu instid0(VALU_DEP_2) | instskip(NEXT) | instid1(VALU_DEP_2)
	v_lshlrev_b32_e32 v4, v4, v15
	v_cmp_ne_u32_e32 vcc_lo, v9, v12
	v_lshl_or_b32 v12, v8, 12, v2
	s_wait_alu 0xfffd
	v_cndmask_b32_e64 v9, 0, 1, vcc_lo
	v_cmp_ne_u32_e32 vcc_lo, v4, v13
	v_lshl_or_b32 v13, v10, 12, v6
	s_delay_alu instid0(VALU_DEP_3) | instskip(SKIP_3) | instid1(VALU_DEP_2)
	v_or_b32_e32 v9, v14, v9
	s_wait_alu 0xfffd
	v_cndmask_b32_e64 v4, 0, 1, vcc_lo
	v_cmp_gt_i32_e32 vcc_lo, 1, v8
	v_or_b32_e32 v4, v15, v4
	s_wait_alu 0xfffd
	v_cndmask_b32_e32 v9, v12, v9, vcc_lo
	v_cmp_gt_i32_e32 vcc_lo, 1, v10
	s_delay_alu instid0(VALU_DEP_2)
	v_and_b32_e32 v12, 7, v9
	s_wait_alu 0xfffd
	v_cndmask_b32_e32 v4, v13, v4, vcc_lo
	v_cmp_ne_u32_e32 vcc_lo, 0, v2
	v_lshrrev_b32_e32 v9, 2, v9
	v_cmp_eq_u32_e64 s0, 3, v12
	s_delay_alu instid0(VALU_DEP_4)
	v_and_b32_e32 v13, 7, v4
	s_wait_alu 0xfffd
	v_cndmask_b32_e64 v2, 0, 1, vcc_lo
	v_cmp_ne_u32_e32 vcc_lo, 0, v6
	v_lshrrev_b32_e32 v4, 2, v4
	v_cmp_lt_i32_e64 s1, 5, v13
	v_cmp_eq_u32_e64 s2, 3, v13
	s_wait_alu 0xfffd
	v_cndmask_b32_e64 v6, 0, 1, vcc_lo
	v_cmp_lt_i32_e32 vcc_lo, 5, v12
	v_lshl_or_b32 v2, v2, 9, 0x7c00
	s_delay_alu instid0(VALU_DEP_3)
	v_lshl_or_b32 v6, v6, 9, 0x7c00
	s_or_b32 vcc_lo, s0, vcc_lo
	s_wait_alu 0xfffe
	v_add_co_ci_u32_e32 v9, vcc_lo, 0, v9, vcc_lo
	s_or_b32 vcc_lo, s2, s1
	s_wait_alu 0xfffe
	v_add_co_ci_u32_e32 v4, vcc_lo, 0, v4, vcc_lo
	v_cmp_gt_i32_e32 vcc_lo, 31, v8
	s_wait_alu 0xfffd
	v_cndmask_b32_e32 v9, 0x7c00, v9, vcc_lo
	v_cmp_gt_i32_e32 vcc_lo, 31, v10
	s_wait_alu 0xfffd
	v_cndmask_b32_e32 v4, 0x7c00, v4, vcc_lo
	v_cmp_eq_u32_e32 vcc_lo, 0x40f, v8
	s_wait_alu 0xfffd
	v_cndmask_b32_e32 v2, v9, v2, vcc_lo
	v_cmp_eq_u32_e32 vcc_lo, 0x40f, v10
	s_delay_alu instid0(VALU_DEP_2)
	v_and_or_b32 v2, 0x8000, v5, v2
	s_wait_alu 0xfffd
	v_cndmask_b32_e32 v4, v4, v6, vcc_lo
	v_add_co_u32 v0, vcc_lo, v0, s22
	s_wait_alu 0xfffd
	v_add_co_ci_u32_e32 v1, vcc_lo, s23, v1, vcc_lo
	s_delay_alu instid0(VALU_DEP_3) | instskip(SKIP_1) | instid1(VALU_DEP_1)
	v_and_or_b32 v4, 0x8000, v7, v4
	v_and_b32_e32 v2, 0xffff, v2
	v_lshl_or_b32 v2, v4, 16, v2
	v_lshrrev_b32_e32 v4, 16, v3
	global_store_b32 v[0:1], v2, off
	global_load_b32 v2, v31, s[20:21] offset:2800
	s_wait_loadcnt 0x0
	v_lshrrev_b32_e32 v5, 16, v2
	s_delay_alu instid0(VALU_DEP_1) | instskip(SKIP_1) | instid1(VALU_DEP_2)
	v_mul_f16_e32 v6, v4, v5
	v_mul_f16_e32 v5, v3, v5
	v_fmac_f16_e32 v6, v3, v2
	s_delay_alu instid0(VALU_DEP_2) | instskip(NEXT) | instid1(VALU_DEP_2)
	v_fma_f16 v2, v2, v4, -v5
	v_cvt_f32_f16_e32 v3, v6
	s_delay_alu instid0(VALU_DEP_2) | instskip(NEXT) | instid1(VALU_DEP_2)
	v_cvt_f32_f16_e32 v4, v2
	v_cvt_f64_f32_e32 v[2:3], v3
	s_delay_alu instid0(VALU_DEP_2) | instskip(NEXT) | instid1(VALU_DEP_2)
	v_cvt_f64_f32_e32 v[4:5], v4
	v_mul_f64_e32 v[2:3], s[24:25], v[2:3]
	s_delay_alu instid0(VALU_DEP_2) | instskip(NEXT) | instid1(VALU_DEP_2)
	v_mul_f64_e32 v[4:5], s[24:25], v[4:5]
	v_and_or_b32 v2, 0x1ff, v3, v2
	s_delay_alu instid0(VALU_DEP_2)
	v_and_or_b32 v4, 0x1ff, v5, v4
	v_lshrrev_b32_e32 v6, 8, v3
	v_bfe_u32 v7, v3, 20, 11
	v_lshrrev_b32_e32 v8, 8, v5
	v_cmp_ne_u32_e32 vcc_lo, 0, v2
	v_bfe_u32 v9, v5, 20, 11
	v_lshrrev_b32_e32 v3, 16, v3
	v_sub_nc_u32_e32 v10, 0x3f1, v7
	v_add_nc_u32_e32 v7, 0xfffffc10, v7
	s_wait_alu 0xfffd
	v_cndmask_b32_e64 v2, 0, 1, vcc_lo
	v_cmp_ne_u32_e32 vcc_lo, 0, v4
	v_lshrrev_b32_e32 v5, 16, v5
	s_delay_alu instid0(VALU_DEP_3) | instskip(SKIP_4) | instid1(VALU_DEP_3)
	v_and_or_b32 v2, 0xffe, v6, v2
	s_wait_alu 0xfffd
	v_cndmask_b32_e64 v4, 0, 1, vcc_lo
	v_sub_nc_u32_e32 v6, 0x3f1, v9
	v_add_nc_u32_e32 v9, 0xfffffc10, v9
	v_and_or_b32 v4, 0xffe, v8, v4
	v_med3_i32 v8, v10, 0, 13
	v_or_b32_e32 v10, 0x1000, v2
	v_med3_i32 v6, v6, 0, 13
	s_delay_alu instid0(VALU_DEP_4) | instskip(NEXT) | instid1(VALU_DEP_3)
	v_or_b32_e32 v12, 0x1000, v4
	v_lshrrev_b32_e32 v13, v8, v10
	s_delay_alu instid0(VALU_DEP_2) | instskip(NEXT) | instid1(VALU_DEP_2)
	v_lshrrev_b32_e32 v14, v6, v12
	v_lshlrev_b32_e32 v8, v8, v13
	s_delay_alu instid0(VALU_DEP_2) | instskip(NEXT) | instid1(VALU_DEP_2)
	v_lshlrev_b32_e32 v6, v6, v14
	v_cmp_ne_u32_e32 vcc_lo, v8, v10
	v_lshl_or_b32 v10, v7, 12, v2
	s_wait_alu 0xfffd
	v_cndmask_b32_e64 v8, 0, 1, vcc_lo
	v_cmp_ne_u32_e32 vcc_lo, v6, v12
	v_lshl_or_b32 v12, v9, 12, v4
	s_delay_alu instid0(VALU_DEP_3) | instskip(SKIP_3) | instid1(VALU_DEP_2)
	v_or_b32_e32 v8, v13, v8
	s_wait_alu 0xfffd
	v_cndmask_b32_e64 v6, 0, 1, vcc_lo
	v_cmp_gt_i32_e32 vcc_lo, 1, v7
	v_or_b32_e32 v6, v14, v6
	s_wait_alu 0xfffd
	v_cndmask_b32_e32 v8, v10, v8, vcc_lo
	v_cmp_gt_i32_e32 vcc_lo, 1, v9
	s_delay_alu instid0(VALU_DEP_2)
	v_and_b32_e32 v10, 7, v8
	s_wait_alu 0xfffd
	v_cndmask_b32_e32 v6, v12, v6, vcc_lo
	v_cmp_ne_u32_e32 vcc_lo, 0, v2
	v_lshrrev_b32_e32 v8, 2, v8
	v_cmp_eq_u32_e64 s0, 3, v10
	s_delay_alu instid0(VALU_DEP_4)
	v_and_b32_e32 v12, 7, v6
	s_wait_alu 0xfffd
	v_cndmask_b32_e64 v2, 0, 1, vcc_lo
	v_cmp_ne_u32_e32 vcc_lo, 0, v4
	v_lshrrev_b32_e32 v6, 2, v6
	v_cmp_lt_i32_e64 s1, 5, v12
	v_cmp_eq_u32_e64 s2, 3, v12
	s_wait_alu 0xfffd
	v_cndmask_b32_e64 v4, 0, 1, vcc_lo
	v_cmp_lt_i32_e32 vcc_lo, 5, v10
	v_lshl_or_b32 v2, v2, 9, 0x7c00
	s_delay_alu instid0(VALU_DEP_3)
	v_lshl_or_b32 v4, v4, 9, 0x7c00
	s_or_b32 vcc_lo, s0, vcc_lo
	s_wait_alu 0xfffe
	v_add_co_ci_u32_e32 v8, vcc_lo, 0, v8, vcc_lo
	s_or_b32 vcc_lo, s2, s1
	s_wait_alu 0xfffe
	v_add_co_ci_u32_e32 v6, vcc_lo, 0, v6, vcc_lo
	v_cmp_gt_i32_e32 vcc_lo, 31, v7
	s_wait_alu 0xfffd
	v_cndmask_b32_e32 v8, 0x7c00, v8, vcc_lo
	v_cmp_gt_i32_e32 vcc_lo, 31, v9
	s_wait_alu 0xfffd
	v_cndmask_b32_e32 v6, 0x7c00, v6, vcc_lo
	v_cmp_eq_u32_e32 vcc_lo, 0x40f, v7
	s_wait_alu 0xfffd
	v_cndmask_b32_e32 v2, v8, v2, vcc_lo
	v_cmp_eq_u32_e32 vcc_lo, 0x40f, v9
	s_delay_alu instid0(VALU_DEP_2)
	v_and_or_b32 v2, 0x8000, v3, v2
	s_wait_alu 0xfffd
	v_cndmask_b32_e32 v4, v6, v4, vcc_lo
	v_add_co_u32 v0, vcc_lo, v0, s22
	s_wait_alu 0xfffd
	v_add_co_ci_u32_e32 v1, vcc_lo, s23, v1, vcc_lo
	s_delay_alu instid0(VALU_DEP_3) | instskip(SKIP_1) | instid1(VALU_DEP_1)
	v_and_or_b32 v3, 0x8000, v5, v4
	v_and_b32_e32 v2, 0xffff, v2
	v_lshl_or_b32 v2, v3, 16, v2
	v_lshrrev_b32_e32 v3, 16, v11
	global_store_b32 v[0:1], v2, off
	global_load_b32 v2, v31, s[20:21] offset:3000
	s_wait_loadcnt 0x0
	v_lshrrev_b32_e32 v4, 16, v2
	s_delay_alu instid0(VALU_DEP_1) | instskip(SKIP_1) | instid1(VALU_DEP_2)
	v_mul_f16_e32 v5, v3, v4
	v_mul_f16_e32 v4, v11, v4
	v_fmac_f16_e32 v5, v11, v2
	s_delay_alu instid0(VALU_DEP_2) | instskip(NEXT) | instid1(VALU_DEP_2)
	v_fma_f16 v2, v2, v3, -v4
	v_cvt_f32_f16_e32 v3, v5
	s_delay_alu instid0(VALU_DEP_2) | instskip(NEXT) | instid1(VALU_DEP_2)
	v_cvt_f32_f16_e32 v4, v2
	v_cvt_f64_f32_e32 v[2:3], v3
	s_delay_alu instid0(VALU_DEP_2) | instskip(NEXT) | instid1(VALU_DEP_2)
	v_cvt_f64_f32_e32 v[4:5], v4
	v_mul_f64_e32 v[2:3], s[24:25], v[2:3]
	s_delay_alu instid0(VALU_DEP_2) | instskip(NEXT) | instid1(VALU_DEP_2)
	v_mul_f64_e32 v[4:5], s[24:25], v[4:5]
	v_and_or_b32 v2, 0x1ff, v3, v2
	s_delay_alu instid0(VALU_DEP_2)
	v_and_or_b32 v4, 0x1ff, v5, v4
	v_lshrrev_b32_e32 v6, 8, v3
	v_bfe_u32 v7, v3, 20, 11
	v_lshrrev_b32_e32 v8, 8, v5
	v_cmp_ne_u32_e32 vcc_lo, 0, v2
	v_bfe_u32 v9, v5, 20, 11
	v_lshrrev_b32_e32 v3, 16, v3
	v_sub_nc_u32_e32 v10, 0x3f1, v7
	v_add_nc_u32_e32 v7, 0xfffffc10, v7
	s_wait_alu 0xfffd
	v_cndmask_b32_e64 v2, 0, 1, vcc_lo
	v_cmp_ne_u32_e32 vcc_lo, 0, v4
	v_lshrrev_b32_e32 v5, 16, v5
	s_delay_alu instid0(VALU_DEP_3) | instskip(SKIP_4) | instid1(VALU_DEP_3)
	v_and_or_b32 v2, 0xffe, v6, v2
	s_wait_alu 0xfffd
	v_cndmask_b32_e64 v4, 0, 1, vcc_lo
	v_sub_nc_u32_e32 v6, 0x3f1, v9
	v_add_nc_u32_e32 v9, 0xfffffc10, v9
	v_and_or_b32 v4, 0xffe, v8, v4
	v_med3_i32 v8, v10, 0, 13
	v_or_b32_e32 v10, 0x1000, v2
	v_med3_i32 v6, v6, 0, 13
	s_delay_alu instid0(VALU_DEP_4) | instskip(NEXT) | instid1(VALU_DEP_3)
	v_or_b32_e32 v11, 0x1000, v4
	v_lshrrev_b32_e32 v12, v8, v10
	s_delay_alu instid0(VALU_DEP_2) | instskip(NEXT) | instid1(VALU_DEP_2)
	v_lshrrev_b32_e32 v13, v6, v11
	v_lshlrev_b32_e32 v8, v8, v12
	s_delay_alu instid0(VALU_DEP_2) | instskip(NEXT) | instid1(VALU_DEP_2)
	v_lshlrev_b32_e32 v6, v6, v13
	v_cmp_ne_u32_e32 vcc_lo, v8, v10
	v_lshl_or_b32 v10, v7, 12, v2
	s_wait_alu 0xfffd
	v_cndmask_b32_e64 v8, 0, 1, vcc_lo
	v_cmp_ne_u32_e32 vcc_lo, v6, v11
	v_lshl_or_b32 v11, v9, 12, v4
	s_delay_alu instid0(VALU_DEP_3) | instskip(SKIP_3) | instid1(VALU_DEP_2)
	v_or_b32_e32 v8, v12, v8
	s_wait_alu 0xfffd
	v_cndmask_b32_e64 v6, 0, 1, vcc_lo
	v_cmp_gt_i32_e32 vcc_lo, 1, v7
	v_or_b32_e32 v6, v13, v6
	s_wait_alu 0xfffd
	v_cndmask_b32_e32 v8, v10, v8, vcc_lo
	v_cmp_gt_i32_e32 vcc_lo, 1, v9
	s_delay_alu instid0(VALU_DEP_2)
	v_and_b32_e32 v10, 7, v8
	s_wait_alu 0xfffd
	v_cndmask_b32_e32 v6, v11, v6, vcc_lo
	v_cmp_ne_u32_e32 vcc_lo, 0, v2
	v_lshrrev_b32_e32 v8, 2, v8
	v_cmp_eq_u32_e64 s0, 3, v10
	s_delay_alu instid0(VALU_DEP_4)
	v_and_b32_e32 v11, 7, v6
	s_wait_alu 0xfffd
	v_cndmask_b32_e64 v2, 0, 1, vcc_lo
	v_cmp_ne_u32_e32 vcc_lo, 0, v4
	v_lshrrev_b32_e32 v6, 2, v6
	v_cmp_lt_i32_e64 s1, 5, v11
	v_cmp_eq_u32_e64 s2, 3, v11
	s_wait_alu 0xfffd
	v_cndmask_b32_e64 v4, 0, 1, vcc_lo
	v_cmp_lt_i32_e32 vcc_lo, 5, v10
	v_lshl_or_b32 v2, v2, 9, 0x7c00
	s_delay_alu instid0(VALU_DEP_3)
	v_lshl_or_b32 v4, v4, 9, 0x7c00
	s_or_b32 vcc_lo, s0, vcc_lo
	s_wait_alu 0xfffe
	v_add_co_ci_u32_e32 v8, vcc_lo, 0, v8, vcc_lo
	s_or_b32 vcc_lo, s2, s1
	s_wait_alu 0xfffe
	v_add_co_ci_u32_e32 v6, vcc_lo, 0, v6, vcc_lo
	v_cmp_gt_i32_e32 vcc_lo, 31, v7
	s_wait_alu 0xfffd
	v_cndmask_b32_e32 v8, 0x7c00, v8, vcc_lo
	v_cmp_gt_i32_e32 vcc_lo, 31, v9
	s_wait_alu 0xfffd
	v_cndmask_b32_e32 v6, 0x7c00, v6, vcc_lo
	v_cmp_eq_u32_e32 vcc_lo, 0x40f, v7
	s_wait_alu 0xfffd
	v_cndmask_b32_e32 v2, v8, v2, vcc_lo
	v_cmp_eq_u32_e32 vcc_lo, 0x40f, v9
	s_delay_alu instid0(VALU_DEP_2)
	v_and_or_b32 v2, 0x8000, v3, v2
	s_wait_alu 0xfffd
	v_cndmask_b32_e32 v4, v6, v4, vcc_lo
	v_add_co_u32 v0, vcc_lo, v0, s22
	s_wait_alu 0xfffd
	v_add_co_ci_u32_e32 v1, vcc_lo, s23, v1, vcc_lo
	s_delay_alu instid0(VALU_DEP_3) | instskip(SKIP_1) | instid1(VALU_DEP_1)
	v_and_or_b32 v3, 0x8000, v5, v4
	v_and_b32_e32 v2, 0xffff, v2
	v_lshl_or_b32 v2, v3, 16, v2
	global_store_b32 v[0:1], v2, off
.LBB0_23:
	s_nop 0
	s_sendmsg sendmsg(MSG_DEALLOC_VGPRS)
	s_endpgm
	.section	.rodata,"a",@progbits
	.p2align	6, 0x0
	.amdhsa_kernel bluestein_single_fwd_len800_dim1_half_op_CI_CI
		.amdhsa_group_segment_fixed_size 3200
		.amdhsa_private_segment_fixed_size 0
		.amdhsa_kernarg_size 104
		.amdhsa_user_sgpr_count 2
		.amdhsa_user_sgpr_dispatch_ptr 0
		.amdhsa_user_sgpr_queue_ptr 0
		.amdhsa_user_sgpr_kernarg_segment_ptr 1
		.amdhsa_user_sgpr_dispatch_id 0
		.amdhsa_user_sgpr_private_segment_size 0
		.amdhsa_wavefront_size32 1
		.amdhsa_uses_dynamic_stack 0
		.amdhsa_enable_private_segment 0
		.amdhsa_system_sgpr_workgroup_id_x 1
		.amdhsa_system_sgpr_workgroup_id_y 0
		.amdhsa_system_sgpr_workgroup_id_z 0
		.amdhsa_system_sgpr_workgroup_info 0
		.amdhsa_system_vgpr_workitem_id 0
		.amdhsa_next_free_vgpr 137
		.amdhsa_next_free_sgpr 26
		.amdhsa_reserve_vcc 1
		.amdhsa_float_round_mode_32 0
		.amdhsa_float_round_mode_16_64 0
		.amdhsa_float_denorm_mode_32 3
		.amdhsa_float_denorm_mode_16_64 3
		.amdhsa_fp16_overflow 0
		.amdhsa_workgroup_processor_mode 1
		.amdhsa_memory_ordered 1
		.amdhsa_forward_progress 0
		.amdhsa_round_robin_scheduling 0
		.amdhsa_exception_fp_ieee_invalid_op 0
		.amdhsa_exception_fp_denorm_src 0
		.amdhsa_exception_fp_ieee_div_zero 0
		.amdhsa_exception_fp_ieee_overflow 0
		.amdhsa_exception_fp_ieee_underflow 0
		.amdhsa_exception_fp_ieee_inexact 0
		.amdhsa_exception_int_div_zero 0
	.end_amdhsa_kernel
	.text
.Lfunc_end0:
	.size	bluestein_single_fwd_len800_dim1_half_op_CI_CI, .Lfunc_end0-bluestein_single_fwd_len800_dim1_half_op_CI_CI
                                        ; -- End function
	.section	.AMDGPU.csdata,"",@progbits
; Kernel info:
; codeLenInByte = 20396
; NumSgprs: 28
; NumVgprs: 137
; ScratchSize: 0
; MemoryBound: 0
; FloatMode: 240
; IeeeMode: 1
; LDSByteSize: 3200 bytes/workgroup (compile time only)
; SGPRBlocks: 3
; VGPRBlocks: 17
; NumSGPRsForWavesPerEU: 28
; NumVGPRsForWavesPerEU: 137
; Occupancy: 10
; WaveLimiterHint : 1
; COMPUTE_PGM_RSRC2:SCRATCH_EN: 0
; COMPUTE_PGM_RSRC2:USER_SGPR: 2
; COMPUTE_PGM_RSRC2:TRAP_HANDLER: 0
; COMPUTE_PGM_RSRC2:TGID_X_EN: 1
; COMPUTE_PGM_RSRC2:TGID_Y_EN: 0
; COMPUTE_PGM_RSRC2:TGID_Z_EN: 0
; COMPUTE_PGM_RSRC2:TIDIG_COMP_CNT: 0
	.text
	.p2alignl 7, 3214868480
	.fill 96, 4, 3214868480
	.type	__hip_cuid_c6e786c8d3d797b4,@object ; @__hip_cuid_c6e786c8d3d797b4
	.section	.bss,"aw",@nobits
	.globl	__hip_cuid_c6e786c8d3d797b4
__hip_cuid_c6e786c8d3d797b4:
	.byte	0                               ; 0x0
	.size	__hip_cuid_c6e786c8d3d797b4, 1

	.ident	"AMD clang version 19.0.0git (https://github.com/RadeonOpenCompute/llvm-project roc-6.4.0 25133 c7fe45cf4b819c5991fe208aaa96edf142730f1d)"
	.section	".note.GNU-stack","",@progbits
	.addrsig
	.addrsig_sym __hip_cuid_c6e786c8d3d797b4
	.amdgpu_metadata
---
amdhsa.kernels:
  - .args:
      - .actual_access:  read_only
        .address_space:  global
        .offset:         0
        .size:           8
        .value_kind:     global_buffer
      - .actual_access:  read_only
        .address_space:  global
        .offset:         8
        .size:           8
        .value_kind:     global_buffer
      - .actual_access:  read_only
        .address_space:  global
        .offset:         16
        .size:           8
        .value_kind:     global_buffer
      - .actual_access:  read_only
        .address_space:  global
        .offset:         24
        .size:           8
        .value_kind:     global_buffer
      - .actual_access:  read_only
        .address_space:  global
        .offset:         32
        .size:           8
        .value_kind:     global_buffer
      - .offset:         40
        .size:           8
        .value_kind:     by_value
      - .address_space:  global
        .offset:         48
        .size:           8
        .value_kind:     global_buffer
      - .address_space:  global
        .offset:         56
        .size:           8
        .value_kind:     global_buffer
      - .address_space:  global
        .offset:         64
        .size:           8
        .value_kind:     global_buffer
      - .address_space:  global
        .offset:         72
        .size:           8
        .value_kind:     global_buffer
      - .offset:         80
        .size:           4
        .value_kind:     by_value
      - .address_space:  global
        .offset:         88
        .size:           8
        .value_kind:     global_buffer
      - .address_space:  global
        .offset:         96
        .size:           8
        .value_kind:     global_buffer
    .group_segment_fixed_size: 3200
    .kernarg_segment_align: 8
    .kernarg_segment_size: 104
    .language:       OpenCL C
    .language_version:
      - 2
      - 0
    .max_flat_workgroup_size: 160
    .name:           bluestein_single_fwd_len800_dim1_half_op_CI_CI
    .private_segment_fixed_size: 0
    .sgpr_count:     28
    .sgpr_spill_count: 0
    .symbol:         bluestein_single_fwd_len800_dim1_half_op_CI_CI.kd
    .uniform_work_group_size: 1
    .uses_dynamic_stack: false
    .vgpr_count:     137
    .vgpr_spill_count: 0
    .wavefront_size: 32
    .workgroup_processor_mode: 1
amdhsa.target:   amdgcn-amd-amdhsa--gfx1201
amdhsa.version:
  - 1
  - 2
...

	.end_amdgpu_metadata
